;; amdgpu-corpus repo=ROCm/rocFFT kind=compiled arch=gfx906 opt=O3
	.text
	.amdgcn_target "amdgcn-amd-amdhsa--gfx906"
	.amdhsa_code_object_version 6
	.protected	bluestein_single_back_len363_dim1_sp_op_CI_CI ; -- Begin function bluestein_single_back_len363_dim1_sp_op_CI_CI
	.globl	bluestein_single_back_len363_dim1_sp_op_CI_CI
	.p2align	8
	.type	bluestein_single_back_len363_dim1_sp_op_CI_CI,@function
bluestein_single_back_len363_dim1_sp_op_CI_CI: ; @bluestein_single_back_len363_dim1_sp_op_CI_CI
; %bb.0:
	v_mul_u32_u24_e32 v1, 0x7c2, v0
	s_load_dwordx4 s[12:15], s[4:5], 0x28
	v_lshrrev_b32_e32 v1, 16, v1
	v_mad_u64_u32 v[64:65], s[0:1], s6, 3, v[1:2]
	v_mov_b32_e32 v65, 0
	s_waitcnt lgkmcnt(0)
	v_cmp_gt_u64_e32 vcc, s[12:13], v[64:65]
	s_and_saveexec_b64 s[0:1], vcc
	s_cbranch_execz .LBB0_10
; %bb.1:
	s_load_dwordx4 s[0:3], s[4:5], 0x18
	s_load_dwordx4 s[8:11], s[4:5], 0x0
	v_mul_lo_u16_e32 v1, 33, v1
	v_sub_u16_e32 v84, v0, v1
	v_lshlrev_b32_e32 v42, 3, v84
	s_waitcnt lgkmcnt(0)
	s_load_dwordx4 s[16:19], s[0:1], 0x0
	s_mov_b32 s12, 0x3f575c64
	s_mov_b32 s7, 0x3ed4b147
	;; [unrolled: 1-line block ×4, first 2 shown]
	s_waitcnt lgkmcnt(0)
	v_mad_u64_u32 v[0:1], s[0:1], s18, v64, 0
	v_mad_u64_u32 v[2:3], s[0:1], s16, v84, 0
	s_load_dwordx2 s[4:5], s[4:5], 0x38
	v_mad_u64_u32 v[4:5], s[0:1], s19, v64, v[1:2]
	v_mad_u64_u32 v[5:6], s[0:1], s17, v84, v[3:4]
	v_mov_b32_e32 v1, v4
	v_lshlrev_b64 v[0:1], 3, v[0:1]
	v_mov_b32_e32 v6, s15
	v_mov_b32_e32 v3, v5
	v_add_co_u32_e32 v4, vcc, s14, v0
	v_addc_co_u32_e32 v5, vcc, v6, v1, vcc
	v_lshlrev_b64 v[0:1], 3, v[2:3]
	s_mul_i32 s0, s17, 0x108
	v_add_co_u32_e32 v0, vcc, v4, v0
	s_mul_hi_u32 s1, s16, 0x108
	v_addc_co_u32_e32 v1, vcc, v5, v1, vcc
	s_add_i32 s0, s1, s0
	s_mul_i32 s1, s16, 0x108
	global_load_dwordx2 v[2:3], v[0:1], off
	v_mov_b32_e32 v4, s0
	v_add_co_u32_e32 v0, vcc, s1, v0
	v_addc_co_u32_e32 v1, vcc, v1, v4, vcc
	v_mov_b32_e32 v5, s0
	v_add_co_u32_e32 v4, vcc, s1, v0
	v_addc_co_u32_e32 v5, vcc, v1, v5, vcc
	;; [unrolled: 3-line block ×4, first 2 shown]
	global_load_dwordx2 v[77:78], v42, s[8:9]
	global_load_dwordx2 v[75:76], v42, s[8:9] offset:264
	global_load_dwordx2 v[73:74], v42, s[8:9] offset:528
	;; [unrolled: 1-line block ×3, first 2 shown]
	global_load_dwordx2 v[10:11], v[0:1], off
	global_load_dwordx2 v[12:13], v[4:5], off
	;; [unrolled: 1-line block ×4, first 2 shown]
	global_load_dwordx2 v[67:68], v42, s[8:9] offset:1056
	v_mov_b32_e32 v1, s0
	v_add_co_u32_e32 v0, vcc, s1, v8
	v_addc_co_u32_e32 v1, vcc, v9, v1, vcc
	global_load_dwordx2 v[4:5], v[0:1], off
	v_mov_b32_e32 v6, s0
	v_add_co_u32_e32 v0, vcc, s1, v0
	v_addc_co_u32_e32 v1, vcc, v1, v6, vcc
	global_load_dwordx2 v[6:7], v[0:1], off
	v_mov_b32_e32 v8, s0
	v_add_co_u32_e32 v0, vcc, s1, v0
	v_addc_co_u32_e32 v1, vcc, v1, v8, vcc
	global_load_dwordx2 v[71:72], v42, s[8:9] offset:1320
	global_load_dwordx2 v[8:9], v[0:1], off
	global_load_dwordx2 v[65:66], v42, s[8:9] offset:1584
	global_load_dwordx2 v[62:63], v42, s[8:9] offset:1848
	v_mov_b32_e32 v18, s0
	v_add_co_u32_e32 v0, vcc, s1, v0
	v_addc_co_u32_e32 v1, vcc, v1, v18, vcc
	global_load_dwordx2 v[18:19], v[0:1], off
	global_load_dwordx2 v[60:61], v42, s[8:9] offset:2112
	v_mov_b32_e32 v20, s0
	v_add_co_u32_e32 v0, vcc, s1, v0
	v_addc_co_u32_e32 v1, vcc, v1, v20, vcc
	global_load_dwordx2 v[20:21], v[0:1], off
	;; [unrolled: 5-line block ×3, first 2 shown]
	global_load_dwordx2 v[56:57], v42, s[8:9] offset:2640
	s_mov_b32 s0, 0xaaaaaaab
	v_mul_hi_u32 v0, v64, s0
	s_load_dwordx4 s[0:3], s[2:3], 0x0
	s_mov_b32 s14, 0xbf75a155
	v_lshrrev_b32_e32 v0, 1, v0
	v_lshl_add_u32 v0, v0, 1, v0
	v_sub_u32_e32 v0, v64, v0
	v_mul_u32_u24_e32 v1, 0x16b, v0
	v_lshlrev_b32_e32 v85, 3, v1
	v_add_u32_e32 v83, v42, v85
	s_waitcnt vmcnt(20)
	v_mul_f32_e32 v0, v3, v78
	v_mul_f32_e32 v1, v2, v78
	v_fmac_f32_e32 v0, v2, v77
	v_fma_f32 v1, v3, v77, -v1
	s_waitcnt vmcnt(16)
	v_mul_f32_e32 v2, v11, v76
	v_mul_f32_e32 v3, v10, v76
	v_fmac_f32_e32 v2, v10, v75
	v_fma_f32 v3, v11, v75, -v3
	ds_write2_b64 v83, v[0:1], v[2:3] offset1:33
	s_waitcnt vmcnt(15)
	v_mul_f32_e32 v0, v13, v74
	v_mul_f32_e32 v1, v12, v74
	s_waitcnt vmcnt(14)
	v_mul_f32_e32 v2, v15, v70
	v_mul_f32_e32 v3, v14, v70
	v_fmac_f32_e32 v0, v12, v73
	v_fma_f32 v1, v13, v73, -v1
	v_fmac_f32_e32 v2, v14, v69
	v_fma_f32 v3, v15, v69, -v3
	ds_write2_b64 v83, v[0:1], v[2:3] offset0:66 offset1:99
	s_waitcnt vmcnt(12)
	v_mul_f32_e32 v0, v17, v68
	v_mul_f32_e32 v1, v16, v68
	s_waitcnt vmcnt(9)
	v_mul_f32_e32 v2, v5, v72
	v_mul_f32_e32 v3, v4, v72
	v_fmac_f32_e32 v0, v16, v67
	v_fma_f32 v1, v17, v67, -v1
	v_fmac_f32_e32 v2, v4, v71
	v_fma_f32 v3, v5, v71, -v3
	ds_write2_b64 v83, v[0:1], v[2:3] offset0:132 offset1:165
	s_waitcnt vmcnt(7)
	v_mul_f32_e32 v0, v7, v66
	v_mul_f32_e32 v1, v6, v66
	s_waitcnt vmcnt(6)
	v_mul_f32_e32 v2, v9, v63
	v_mul_f32_e32 v3, v8, v63
	v_fmac_f32_e32 v0, v6, v65
	v_fma_f32 v1, v7, v65, -v1
	v_fmac_f32_e32 v2, v8, v62
	v_fma_f32 v3, v9, v62, -v3
	ds_write2_b64 v83, v[0:1], v[2:3] offset0:198 offset1:231
	s_waitcnt vmcnt(4)
	v_mul_f32_e32 v0, v19, v61
	v_mul_f32_e32 v1, v18, v61
	s_waitcnt vmcnt(2)
	v_mul_f32_e32 v2, v21, v59
	v_mul_f32_e32 v3, v20, v59
	v_fmac_f32_e32 v0, v18, v60
	v_fma_f32 v1, v19, v60, -v1
	v_fmac_f32_e32 v2, v20, v58
	v_fma_f32 v3, v21, v58, -v3
	v_add_u32_e32 v16, 0x800, v83
	ds_write2_b64 v16, v[0:1], v[2:3] offset0:8 offset1:41
	s_waitcnt vmcnt(0)
	v_mul_f32_e32 v0, v23, v57
	v_mul_f32_e32 v1, v22, v57
	v_fmac_f32_e32 v0, v22, v56
	v_fma_f32 v1, v23, v56, -v1
	ds_write_b64 v83, v[0:1] offset:2640
	s_waitcnt lgkmcnt(0)
	s_barrier
	ds_read2_b64 v[0:3], v83 offset1:33
	ds_read2_b64 v[4:7], v83 offset0:66 offset1:99
	ds_read2_b64 v[8:11], v83 offset0:132 offset1:165
	;; [unrolled: 1-line block ×4, first 2 shown]
	ds_read_b64 v[20:21], v83 offset:2640
	s_waitcnt lgkmcnt(5)
	v_add_f32_e32 v22, v0, v2
	v_add_f32_e32 v23, v1, v3
	s_waitcnt lgkmcnt(4)
	v_add_f32_e32 v22, v22, v4
	v_add_f32_e32 v23, v23, v5
	v_add_f32_e32 v22, v22, v6
	v_add_f32_e32 v23, v23, v7
	s_waitcnt lgkmcnt(3)
	v_add_f32_e32 v22, v22, v8
	v_add_f32_e32 v23, v23, v9
	v_add_f32_e32 v22, v22, v10
	v_add_f32_e32 v23, v23, v11
	s_waitcnt lgkmcnt(2)
	v_add_f32_e32 v22, v22, v12
	v_add_f32_e32 v23, v23, v13
	v_add_f32_e32 v22, v22, v14
	v_add_f32_e32 v23, v23, v15
	s_waitcnt lgkmcnt(1)
	v_add_f32_e32 v22, v22, v16
	v_add_f32_e32 v23, v23, v17
	v_add_f32_e32 v22, v22, v18
	v_add_f32_e32 v25, v18, v4
	v_sub_f32_e32 v18, v4, v18
	s_waitcnt lgkmcnt(0)
	v_sub_f32_e32 v4, v3, v21
	v_add_f32_e32 v23, v23, v19
	v_add_f32_e32 v24, v20, v2
	;; [unrolled: 1-line block ×3, first 2 shown]
	v_sub_f32_e32 v19, v5, v19
	v_add_f32_e32 v28, v17, v7
	v_sub_f32_e32 v30, v7, v17
	v_add_f32_e32 v32, v15, v9
	;; [unrolled: 2-line block ×3, first 2 shown]
	v_sub_f32_e32 v38, v11, v13
	v_mul_f32_e32 v5, 0xbf0a6770, v4
	v_mul_f32_e32 v7, 0xbf68dda4, v4
	;; [unrolled: 1-line block ×5, first 2 shown]
	v_sub_f32_e32 v2, v2, v20
	v_add_f32_e32 v27, v16, v6
	v_sub_f32_e32 v29, v6, v16
	v_add_f32_e32 v31, v14, v8
	;; [unrolled: 2-line block ×3, first 2 shown]
	v_sub_f32_e32 v37, v10, v12
	v_fma_f32 v6, v24, s12, -v5
	v_fmac_f32_e32 v5, 0x3f575c64, v24
	v_fma_f32 v8, v24, s7, -v7
	v_fmac_f32_e32 v7, 0x3ed4b147, v24
	;; [unrolled: 2-line block ×5, first 2 shown]
	v_add_f32_e32 v3, v21, v3
	v_mul_f32_e32 v16, 0xbf0a6770, v2
	v_mul_f32_e32 v24, 0xbf68dda4, v2
	;; [unrolled: 1-line block ×5, first 2 shown]
	v_mov_b32_e32 v17, v16
	v_mov_b32_e32 v34, v24
	;; [unrolled: 1-line block ×5, first 2 shown]
	v_fma_f32 v2, v3, s14, -v2
	v_add_f32_e32 v46, v0, v4
	v_mul_f32_e32 v4, 0xbf68dda4, v19
	v_fmac_f32_e32 v17, 0x3f575c64, v3
	v_fma_f32 v16, v3, s12, -v16
	v_fmac_f32_e32 v34, 0x3ed4b147, v3
	v_fma_f32 v24, v3, s7, -v24
	v_fmac_f32_e32 v39, 0xbe11bafb, v3
	v_fma_f32 v35, v3, s6, -v35
	v_fmac_f32_e32 v41, 0xbf27a4f4, v3
	v_fma_f32 v40, v3, s13, -v40
	v_fmac_f32_e32 v43, 0xbf75a155, v3
	v_add_f32_e32 v3, v0, v6
	v_add_f32_e32 v45, v0, v11
	v_add_f32_e32 v47, v1, v2
	v_fma_f32 v2, v25, s7, -v4
	v_mul_f32_e32 v11, 0xbf68dda4, v18
	v_add_f32_e32 v2, v2, v3
	v_mov_b32_e32 v3, v11
	v_add_f32_e32 v6, v1, v17
	v_fmac_f32_e32 v3, 0x3ed4b147, v26
	v_add_f32_e32 v3, v3, v6
	v_mul_f32_e32 v6, 0xbf7d64f0, v30
	v_fma_f32 v17, v27, s6, -v6
	v_add_f32_e32 v2, v17, v2
	v_mul_f32_e32 v17, 0xbf7d64f0, v29
	v_add_f32_e32 v5, v0, v5
	v_add_f32_e32 v8, v0, v8
	;; [unrolled: 1-line block ×8, first 2 shown]
	v_mov_b32_e32 v20, v17
	v_fmac_f32_e32 v20, 0xbe11bafb, v28
	v_add_f32_e32 v3, v20, v3
	v_mul_f32_e32 v20, 0xbf4178ce, v15
	v_add_f32_e32 v16, v1, v16
	v_add_f32_e32 v34, v1, v34
	;; [unrolled: 1-line block ×9, first 2 shown]
	v_fma_f32 v21, v31, s13, -v20
	v_add_f32_e32 v2, v21, v2
	v_mul_f32_e32 v21, 0xbf4178ce, v14
	v_mov_b32_e32 v22, v21
	v_fmac_f32_e32 v22, 0xbf27a4f4, v32
	v_fmac_f32_e32 v4, 0x3ed4b147, v25
	v_add_f32_e32 v3, v22, v3
	v_mul_f32_e32 v22, 0xbe903f40, v38
	v_add_f32_e32 v4, v4, v5
	v_fma_f32 v5, v26, s7, -v11
	v_fmac_f32_e32 v6, 0xbe11bafb, v27
	v_fma_f32 v23, v33, s14, -v22
	v_add_f32_e32 v5, v5, v16
	v_add_f32_e32 v4, v6, v4
	v_fma_f32 v6, v28, s6, -v17
	v_add_f32_e32 v2, v23, v2
	v_mul_f32_e32 v23, 0xbe903f40, v37
	v_add_f32_e32 v5, v6, v5
	v_fma_f32 v6, v32, s13, -v21
	v_fmac_f32_e32 v20, 0xbf27a4f4, v31
	v_add_f32_e32 v5, v6, v5
	v_fma_f32 v6, v36, s14, -v23
	v_add_f32_e32 v4, v20, v4
	v_fmac_f32_e32 v22, 0xbf75a155, v33
	v_add_f32_e32 v17, v6, v5
	v_mul_f32_e32 v6, 0xbf4178ce, v19
	v_add_f32_e32 v16, v22, v4
	v_fma_f32 v4, v25, s13, -v6
	v_mul_f32_e32 v11, 0x3e903f40, v30
	v_add_f32_e32 v4, v4, v8
	v_mul_f32_e32 v8, 0xbf4178ce, v18
	v_fma_f32 v20, v27, s14, -v11
	v_mov_b32_e32 v5, v8
	v_add_f32_e32 v4, v20, v4
	v_mul_f32_e32 v20, 0x3e903f40, v29
	v_fmac_f32_e32 v5, 0xbf27a4f4, v26
	v_mov_b32_e32 v21, v20
	v_add_f32_e32 v5, v5, v34
	v_fmac_f32_e32 v21, 0xbf75a155, v28
	v_add_f32_e32 v5, v21, v5
	v_mul_f32_e32 v21, 0x3f7d64f0, v15
	v_fma_f32 v22, v31, s6, -v21
	v_add_f32_e32 v4, v22, v4
	v_mul_f32_e32 v22, 0x3f7d64f0, v14
	v_mov_b32_e32 v35, v23
	v_mov_b32_e32 v23, v22
	v_fmac_f32_e32 v23, 0xbe11bafb, v32
	v_fmac_f32_e32 v35, 0xbf75a155, v36
	v_add_f32_e32 v5, v23, v5
	v_mul_f32_e32 v23, 0x3f0a6770, v38
	v_fmac_f32_e32 v6, 0xbf27a4f4, v25
	v_add_f32_e32 v3, v35, v3
	v_fma_f32 v34, v33, s12, -v23
	v_mul_f32_e32 v35, 0x3f0a6770, v37
	v_add_f32_e32 v6, v6, v7
	v_fma_f32 v7, v26, s13, -v8
	v_fmac_f32_e32 v11, 0xbf75a155, v27
	v_add_f32_e32 v4, v34, v4
	v_mov_b32_e32 v34, v35
	v_add_f32_e32 v7, v7, v24
	v_add_f32_e32 v6, v11, v6
	v_fma_f32 v8, v28, s14, -v20
	v_fmac_f32_e32 v21, 0xbe11bafb, v31
	v_fmac_f32_e32 v34, 0x3f575c64, v36
	v_add_f32_e32 v7, v8, v7
	v_add_f32_e32 v6, v21, v6
	v_fma_f32 v8, v32, s6, -v22
	v_fmac_f32_e32 v23, 0x3f575c64, v33
	v_add_f32_e32 v5, v34, v5
	v_add_f32_e32 v7, v8, v7
	;; [unrolled: 1-line block ×3, first 2 shown]
	v_fma_f32 v6, v36, s12, -v35
	v_mul_f32_e32 v8, 0x3e903f40, v19
	v_add_f32_e32 v35, v6, v7
	v_fma_f32 v6, v25, s14, -v8
	v_mul_f32_e32 v11, 0x3f68dda4, v30
	v_add_f32_e32 v6, v6, v10
	v_mul_f32_e32 v10, 0x3e903f40, v18
	v_fma_f32 v20, v27, s7, -v11
	v_mov_b32_e32 v7, v10
	v_add_f32_e32 v6, v20, v6
	v_mul_f32_e32 v20, 0x3f68dda4, v29
	v_fmac_f32_e32 v7, 0xbf75a155, v26
	v_mov_b32_e32 v21, v20
	v_add_f32_e32 v7, v7, v39
	v_fmac_f32_e32 v21, 0x3ed4b147, v28
	v_add_f32_e32 v7, v21, v7
	v_mul_f32_e32 v21, 0xbf0a6770, v15
	v_fma_f32 v22, v31, s12, -v21
	v_add_f32_e32 v6, v22, v6
	v_mul_f32_e32 v22, 0xbf0a6770, v14
	v_mov_b32_e32 v23, v22
	v_fmac_f32_e32 v23, 0x3f575c64, v32
	v_fmac_f32_e32 v8, 0xbf75a155, v25
	v_add_f32_e32 v7, v23, v7
	v_mul_f32_e32 v23, 0xbf4178ce, v38
	v_add_f32_e32 v8, v8, v9
	v_fma_f32 v9, v26, s14, -v10
	v_fma_f32 v24, v33, s13, -v23
	v_add_f32_e32 v9, v9, v44
	v_fma_f32 v10, v28, s7, -v20
	v_add_f32_e32 v6, v24, v6
	v_mul_f32_e32 v24, 0xbf4178ce, v37
	v_fmac_f32_e32 v11, 0x3ed4b147, v27
	v_add_f32_e32 v9, v10, v9
	v_fma_f32 v10, v32, s12, -v22
	v_add_f32_e32 v8, v11, v8
	v_fmac_f32_e32 v21, 0x3f575c64, v31
	v_add_f32_e32 v9, v10, v9
	v_fma_f32 v10, v36, s13, -v24
	v_mul_f32_e32 v20, 0x3f7d64f0, v19
	v_add_f32_e32 v8, v21, v8
	v_add_f32_e32 v9, v10, v9
	v_fma_f32 v10, v25, s6, -v20
	v_mul_f32_e32 v21, 0xbf0a6770, v30
	v_add_f32_e32 v10, v10, v12
	v_mul_f32_e32 v12, 0x3f7d64f0, v18
	v_fma_f32 v22, v27, s12, -v21
	v_fmac_f32_e32 v20, 0xbe11bafb, v25
	v_fmac_f32_e32 v23, 0xbf27a4f4, v33
	v_mov_b32_e32 v11, v12
	v_add_f32_e32 v10, v22, v10
	v_mul_f32_e32 v22, 0xbf0a6770, v29
	v_add_f32_e32 v20, v20, v45
	v_fma_f32 v12, v26, s6, -v12
	v_fmac_f32_e32 v21, 0x3f575c64, v27
	v_add_f32_e32 v8, v23, v8
	v_fmac_f32_e32 v11, 0xbe11bafb, v26
	v_mov_b32_e32 v23, v22
	v_add_f32_e32 v12, v12, v40
	v_mul_f32_e32 v19, 0x3f0a6770, v19
	v_add_f32_e32 v20, v21, v20
	v_fma_f32 v21, v28, s12, -v22
	v_add_f32_e32 v11, v11, v41
	v_fmac_f32_e32 v23, 0x3f575c64, v28
	v_fma_f32 v40, v25, s12, -v19
	v_add_f32_e32 v12, v21, v12
	v_mul_f32_e32 v21, 0xbf4178ce, v30
	v_add_f32_e32 v11, v23, v11
	v_mul_f32_e32 v23, 0xbe903f40, v15
	;; [unrolled: 2-line block ×3, first 2 shown]
	v_fmac_f32_e32 v19, 0x3f575c64, v25
	v_fma_f32 v22, v27, s13, -v21
	v_mov_b32_e32 v39, v24
	v_fma_f32 v24, v31, s14, -v23
	v_mov_b32_e32 v40, v18
	v_add_f32_e32 v19, v19, v46
	v_fma_f32 v18, v26, s12, -v18
	v_add_f32_e32 v13, v22, v13
	v_mul_f32_e32 v22, 0xbf4178ce, v29
	v_fmac_f32_e32 v21, 0xbf27a4f4, v27
	v_add_f32_e32 v10, v24, v10
	v_mul_f32_e32 v24, 0xbe903f40, v14
	v_add_f32_e32 v18, v18, v47
	v_add_f32_e32 v19, v21, v19
	v_fma_f32 v21, v28, s13, -v22
	v_add_f32_e32 v18, v21, v18
	v_fma_f32 v21, v32, s14, -v24
	v_fmac_f32_e32 v39, 0xbf27a4f4, v36
	v_add_f32_e32 v21, v21, v12
	v_mul_f32_e32 v12, 0x3f68dda4, v15
	v_add_f32_e32 v7, v39, v7
	v_mov_b32_e32 v39, v24
	v_fma_f32 v15, v31, s7, -v12
	v_fmac_f32_e32 v39, 0xbf75a155, v32
	v_fmac_f32_e32 v40, 0x3f575c64, v26
	v_mov_b32_e32 v25, v22
	v_add_f32_e32 v15, v15, v13
	v_mul_f32_e32 v13, 0x3f68dda4, v14
	v_fmac_f32_e32 v12, 0x3ed4b147, v31
	v_add_f32_e32 v11, v39, v11
	v_mul_f32_e32 v39, 0x3f68dda4, v38
	v_add_f32_e32 v40, v40, v43
	v_fmac_f32_e32 v25, 0xbf27a4f4, v28
	v_fmac_f32_e32 v23, 0xbf75a155, v31
	v_mov_b32_e32 v14, v13
	v_add_f32_e32 v19, v12, v19
	v_fma_f32 v12, v32, s7, -v13
	v_fma_f32 v41, v33, s7, -v39
	v_add_f32_e32 v25, v25, v40
	v_add_f32_e32 v20, v23, v20
	v_fmac_f32_e32 v14, 0x3ed4b147, v32
	v_add_f32_e32 v23, v12, v18
	v_fmac_f32_e32 v39, 0x3ed4b147, v33
	v_mul_f32_e32 v18, 0xbf7d64f0, v38
	v_add_f32_e32 v10, v41, v10
	v_mul_f32_e32 v41, 0x3f68dda4, v37
	v_add_f32_e32 v22, v14, v25
	v_add_f32_e32 v12, v39, v20
	v_fma_f32 v14, v33, s6, -v18
	v_mul_f32_e32 v20, 0xbf7d64f0, v37
	v_fmac_f32_e32 v18, 0xbe11bafb, v33
	v_mov_b32_e32 v44, v41
	v_add_f32_e32 v14, v14, v15
	v_mov_b32_e32 v15, v20
	v_add_f32_e32 v18, v18, v19
	v_fma_f32 v19, v36, s6, -v20
	v_mul_lo_u16_e32 v20, 11, v84
	v_fmac_f32_e32 v44, 0x3ed4b147, v36
	v_fma_f32 v13, v36, s7, -v41
	v_fmac_f32_e32 v15, 0xbe11bafb, v36
	v_lshl_add_u32 v43, v20, 3, v85
	v_add_f32_e32 v11, v44, v11
	v_add_f32_e32 v13, v13, v21
	;; [unrolled: 1-line block ×4, first 2 shown]
	s_barrier
	ds_write2_b64 v43, v[0:1], v[2:3] offset1:1
	ds_write2_b64 v43, v[4:5], v[6:7] offset0:2 offset1:3
	ds_write2_b64 v43, v[10:11], v[14:15] offset0:4 offset1:5
	;; [unrolled: 1-line block ×4, first 2 shown]
	ds_write_b64 v43, v[16:17] offset:80
	v_add_u32_e32 v0, 0x400, v83
	s_waitcnt lgkmcnt(0)
	s_barrier
	ds_read2_b64 v[22:25], v83 offset1:33
	ds_read2_b64 v[18:21], v83 offset0:66 offset1:121
	ds_read2_b64 v[26:29], v0 offset0:114 offset1:147
	;; [unrolled: 1-line block ×3, first 2 shown]
	ds_read_b64 v[38:39], v83 offset:2464
	v_mov_b32_e32 v40, s9
	v_add_co_u32_e32 v36, vcc, s8, v42
	v_addc_co_u32_e32 v37, vcc, 0, v40, vcc
	v_cmp_gt_u16_e32 vcc, 22, v84
                                        ; implicit-def: $vgpr40
	s_and_saveexec_b64 s[6:7], vcc
	s_cbranch_execz .LBB0_3
; %bb.2:
	ds_read2_b64 v[14:17], v83 offset0:99 offset1:220
	ds_read_b64 v[40:41], v83 offset:2728
	s_waitcnt lgkmcnt(1)
	v_mov_b32_e32 v34, v14
	v_mov_b32_e32 v35, v15
.LBB0_3:
	s_or_b64 exec, exec, s[6:7]
	s_movk_i32 s6, 0x75
	v_add_u16_e32 v0, 0x42, v84
	v_mul_lo_u16_sdwa v1, v0, s6 dst_sel:DWORD dst_unused:UNUSED_PAD src0_sel:BYTE_0 src1_sel:DWORD
	v_sub_u16_sdwa v2, v0, v1 dst_sel:DWORD dst_unused:UNUSED_PAD src0_sel:DWORD src1_sel:BYTE_1
	v_lshrrev_b16_e32 v2, 1, v2
	v_and_b32_e32 v2, 0x7f, v2
	v_mul_lo_u16_sdwa v12, v84, s6 dst_sel:DWORD dst_unused:UNUSED_PAD src0_sel:BYTE_0 src1_sel:DWORD
	v_add_u16_sdwa v1, v2, v1 dst_sel:DWORD dst_unused:UNUSED_PAD src0_sel:DWORD src1_sel:BYTE_1
	v_sub_u16_sdwa v13, v84, v12 dst_sel:DWORD dst_unused:UNUSED_PAD src0_sel:DWORD src1_sel:BYTE_1
	v_lshrrev_b16_e32 v48, 3, v1
	v_lshrrev_b16_e32 v13, 1, v13
	v_mul_lo_u16_e32 v1, 11, v48
	v_and_b32_e32 v13, 0x7f, v13
	v_sub_u16_e32 v49, v0, v1
	v_add_u16_e32 v1, 0x63, v84
	v_add_u16_e32 v9, 33, v84
	v_add_u16_sdwa v12, v13, v12 dst_sel:DWORD dst_unused:UNUSED_PAD src0_sel:DWORD src1_sel:BYTE_1
	v_mul_lo_u16_sdwa v2, v1, s6 dst_sel:DWORD dst_unused:UNUSED_PAD src0_sel:BYTE_0 src1_sel:DWORD
	v_mul_lo_u16_sdwa v10, v9, s6 dst_sel:DWORD dst_unused:UNUSED_PAD src0_sel:BYTE_0 src1_sel:DWORD
	v_lshrrev_b16_e32 v52, 3, v12
	v_sub_u16_sdwa v3, v1, v2 dst_sel:DWORD dst_unused:UNUSED_PAD src0_sel:DWORD src1_sel:BYTE_1
	v_sub_u16_sdwa v11, v9, v10 dst_sel:DWORD dst_unused:UNUSED_PAD src0_sel:DWORD src1_sel:BYTE_1
	v_mul_lo_u16_e32 v12, 11, v52
	v_lshrrev_b16_e32 v3, 1, v3
	v_lshrrev_b16_e32 v11, 1, v11
	v_sub_u16_e32 v53, v84, v12
	v_and_b32_e32 v3, 0x7f, v3
	v_and_b32_e32 v11, 0x7f, v11
	v_lshlrev_b16_e32 v12, 1, v53
	v_mov_b32_e32 v8, 4
	v_add_u16_sdwa v2, v3, v2 dst_sel:DWORD dst_unused:UNUSED_PAD src0_sel:DWORD src1_sel:BYTE_1
	v_add_u16_sdwa v10, v11, v10 dst_sel:DWORD dst_unused:UNUSED_PAD src0_sel:DWORD src1_sel:BYTE_1
	v_and_b32_e32 v12, 0xfe, v12
	v_lshlrev_b32_sdwa v0, v8, v49 dst_sel:DWORD dst_unused:UNUSED_PAD src0_sel:DWORD src1_sel:BYTE_0
	v_lshrrev_b16_e32 v86, 3, v2
	v_lshrrev_b16_e32 v50, 3, v10
	v_lshlrev_b32_e32 v12, 3, v12
	global_load_dwordx4 v[4:7], v0, s[10:11]
	v_mul_lo_u16_e32 v10, 11, v50
	global_load_dwordx4 v[12:15], v12, s[10:11]
	v_mul_lo_u16_e32 v0, 11, v86
	v_sub_u16_e32 v87, v1, v0
	v_sub_u16_e32 v51, v9, v10
	v_lshlrev_b32_sdwa v0, v8, v87 dst_sel:DWORD dst_unused:UNUSED_PAD src0_sel:DWORD src1_sel:BYTE_0
	v_lshlrev_b32_sdwa v8, v8, v51 dst_sel:DWORD dst_unused:UNUSED_PAD src0_sel:DWORD src1_sel:BYTE_0
	global_load_dwordx4 v[0:3], v0, s[10:11]
	v_mad_legacy_u16 v52, v52, 33, v53
	global_load_dwordx4 v[8:11], v8, s[10:11]
	v_and_b32_e32 v52, 0xff, v52
	s_waitcnt vmcnt(0) lgkmcnt(0)
	s_barrier
	v_mul_f32_e32 v55, v38, v7
	v_mul_f32_e32 v46, v33, v5
	;; [unrolled: 1-line block ×3, first 2 shown]
	v_fmac_f32_e32 v55, v39, v6
	v_mul_f32_e32 v47, v32, v5
	v_fma_f32 v90, v32, v4, -v46
	v_fmac_f32_e32 v47, v33, v4
	v_fma_f32 v54, v38, v6, -v54
	v_mul_f32_e32 v44, v16, v1
	v_mul_f32_e32 v80, v41, v3
	;; [unrolled: 1-line block ×6, first 2 shown]
	v_fma_f32 v39, v30, v8, -v81
	v_fmac_f32_e32 v82, v31, v8
	v_fmac_f32_e32 v89, v29, v10
	v_mul_f32_e32 v29, v20, v13
	v_mul_f32_e32 v31, v26, v15
	;; [unrolled: 1-line block ×4, first 2 shown]
	v_fmac_f32_e32 v44, v17, v0
	v_fma_f32 v17, v40, v2, -v80
	v_fma_f32 v40, v28, v10, -v88
	v_mul_f32_e32 v30, v27, v15
	v_add_f32_e32 v32, v24, v39
	v_fmac_f32_e32 v29, v21, v12
	v_fmac_f32_e32 v31, v27, v14
	v_mul_f32_e32 v28, v21, v13
	v_fma_f32 v21, v26, v14, -v30
	v_add_f32_e32 v26, v32, v40
	v_add_f32_e32 v32, v23, v29
	;; [unrolled: 1-line block ×3, first 2 shown]
	v_fmac_f32_e32 v45, v41, v2
	v_add_f32_e32 v38, v39, v40
	v_fma_f32 v20, v20, v12, -v28
	v_sub_f32_e32 v41, v29, v31
	v_add_f32_e32 v29, v32, v31
	v_fma_f32 v31, -0.5, v33, v23
	v_add_f32_e32 v27, v22, v20
	v_add_f32_e32 v30, v20, v21
	v_sub_f32_e32 v20, v20, v21
	v_mov_b32_e32 v33, v31
	v_fma_f32 v24, -0.5, v38, v24
	v_fmac_f32_e32 v31, 0x3f5db3d7, v20
	v_fmac_f32_e32 v33, 0xbf5db3d7, v20
	v_sub_f32_e32 v20, v82, v89
	v_mov_b32_e32 v38, v24
	v_fmac_f32_e32 v38, 0x3f5db3d7, v20
	v_fmac_f32_e32 v24, 0xbf5db3d7, v20
	v_add_f32_e32 v20, v25, v82
	v_add_f32_e32 v28, v27, v21
	;; [unrolled: 1-line block ×4, first 2 shown]
	v_fmac_f32_e32 v25, -0.5, v20
	v_sub_f32_e32 v20, v39, v40
	v_mov_b32_e32 v39, v25
	v_fmac_f32_e32 v39, 0xbf5db3d7, v20
	v_fmac_f32_e32 v25, 0x3f5db3d7, v20
	v_add_f32_e32 v20, v18, v90
	v_add_f32_e32 v40, v20, v54
	;; [unrolled: 1-line block ×3, first 2 shown]
	v_fma_f32 v18, -0.5, v20, v18
	v_fma_f32 v30, -0.5, v30, v22
	v_sub_f32_e32 v20, v47, v55
	v_mov_b32_e32 v46, v18
	v_mov_b32_e32 v32, v30
	v_fmac_f32_e32 v46, 0x3f5db3d7, v20
	v_fmac_f32_e32 v18, 0xbf5db3d7, v20
	v_add_f32_e32 v20, v19, v47
	v_fmac_f32_e32 v30, 0xbf5db3d7, v41
	v_fmac_f32_e32 v32, 0x3f5db3d7, v41
	v_add_f32_e32 v41, v20, v55
	v_add_f32_e32 v20, v47, v55
	v_lshl_add_u32 v88, v52, 3, v85
	v_fmac_f32_e32 v19, -0.5, v20
	ds_write2_b64 v88, v[28:29], v[32:33] offset1:11
	ds_write_b64 v88, v[30:31] offset:176
	v_mul_u32_u24_e32 v28, 33, v50
	v_fma_f32 v16, v16, v0, -v79
	v_sub_f32_e32 v20, v90, v54
	v_mov_b32_e32 v47, v19
	v_add_u32_sdwa v28, v28, v51 dst_sel:DWORD dst_unused:UNUSED_PAD src0_sel:DWORD src1_sel:BYTE_0
	v_fmac_f32_e32 v47, 0xbf5db3d7, v20
	v_fmac_f32_e32 v19, 0x3f5db3d7, v20
	v_add_f32_e32 v20, v16, v17
	v_add_f32_e32 v22, v44, v45
	v_lshl_add_u32 v89, v28, 3, v85
	v_fma_f32 v20, -0.5, v20, v34
	v_fma_f32 v22, -0.5, v22, v35
	ds_write2_b64 v89, v[26:27], v[38:39] offset1:11
	ds_write_b64 v89, v[24:25] offset:176
	v_mul_u32_u24_e32 v24, 33, v48
	v_sub_f32_e32 v21, v44, v45
	v_mov_b32_e32 v79, v20
	v_sub_f32_e32 v23, v16, v17
	v_mov_b32_e32 v80, v22
	v_add_u32_sdwa v24, v24, v49 dst_sel:DWORD dst_unused:UNUSED_PAD src0_sel:DWORD src1_sel:BYTE_0
	v_fmac_f32_e32 v79, 0xbf5db3d7, v21
	v_fmac_f32_e32 v80, 0x3f5db3d7, v23
	v_lshl_add_u32 v90, v24, 3, v85
	ds_write2_b64 v90, v[40:41], v[46:47] offset1:11
	ds_write_b64 v90, v[18:19] offset:176
	s_and_saveexec_b64 s[6:7], vcc
	s_cbranch_execz .LBB0_5
; %bb.4:
	v_mul_f32_e32 v18, 0x3f5db3d7, v21
	v_add_f32_e32 v16, v34, v16
	v_add_f32_e32 v18, v18, v20
	;; [unrolled: 1-line block ×3, first 2 shown]
	v_mul_u32_u24_e32 v16, 33, v86
	v_mul_f32_e32 v19, 0x3f5db3d7, v23
	v_add_f32_e32 v21, v35, v44
	v_add_u32_sdwa v16, v16, v87 dst_sel:DWORD dst_unused:UNUSED_PAD src0_sel:DWORD src1_sel:BYTE_0
	v_sub_f32_e32 v19, v22, v19
	v_add_f32_e32 v21, v21, v45
	v_lshl_add_u32 v16, v16, 3, v85
	ds_write2_b64 v16, v[20:21], v[18:19] offset1:11
	ds_write_b64 v16, v[79:80] offset:176
.LBB0_5:
	s_or_b64 exec, exec, s[6:7]
	v_mov_b32_e32 v17, s11
	s_movk_i32 s6, 0x50
	v_mov_b32_e32 v16, s10
	v_mad_u64_u32 v[38:39], s[6:7], v84, s6, v[16:17]
	s_waitcnt lgkmcnt(0)
	s_barrier
	global_load_dwordx4 v[28:31], v[38:39], off offset:176
	global_load_dwordx4 v[24:27], v[38:39], off offset:192
	;; [unrolled: 1-line block ×5, first 2 shown]
	ds_read2_b64 v[44:47], v83 offset1:33
	ds_read2_b64 v[48:51], v83 offset0:66 offset1:99
	ds_read2_b64 v[52:55], v83 offset0:132 offset1:165
	;; [unrolled: 1-line block ×3, first 2 shown]
	ds_read_b64 v[39:40], v83 offset:2640
	v_add_u32_e32 v38, 0x800, v83
	ds_read2_b64 v[95:98], v38 offset0:8 offset1:41
	s_mov_b32 s11, 0x3f575c64
	s_mov_b32 s10, 0x3ed4b147
	;; [unrolled: 1-line block ×3, first 2 shown]
	s_add_u32 s6, s8, 0xb58
	s_addc_u32 s7, s9, 0
	s_waitcnt vmcnt(4) lgkmcnt(5)
	v_mul_f32_e32 v41, v47, v29
	v_mul_f32_e32 v81, v46, v29
	s_waitcnt lgkmcnt(4)
	v_mul_f32_e32 v82, v49, v31
	v_mul_f32_e32 v99, v48, v31
	s_waitcnt vmcnt(2) lgkmcnt(3)
	v_mul_f32_e32 v104, v55, v21
	s_waitcnt vmcnt(0) lgkmcnt(1)
	v_mul_f32_e32 v115, v39, v35
	v_fma_f32 v41, v46, v28, -v41
	v_fmac_f32_e32 v81, v47, v28
	v_mul_f32_e32 v100, v51, v25
	v_mul_f32_e32 v101, v50, v25
	;; [unrolled: 1-line block ×4, first 2 shown]
	v_fma_f32 v46, v48, v30, -v82
	v_fmac_f32_e32 v99, v49, v30
	v_fma_f32 v49, v54, v20, -v104
	v_fmac_f32_e32 v115, v40, v34
	v_add_f32_e32 v40, v44, v41
	v_add_f32_e32 v54, v45, v81
	v_mul_f32_e32 v102, v53, v27
	v_mul_f32_e32 v103, v52, v27
	v_fma_f32 v47, v50, v24, -v100
	v_fmac_f32_e32 v101, v51, v24
	v_add_f32_e32 v40, v40, v46
	v_add_f32_e32 v54, v54, v99
	v_fma_f32 v48, v52, v26, -v102
	v_fmac_f32_e32 v103, v53, v26
	v_add_f32_e32 v40, v40, v47
	v_add_f32_e32 v54, v54, v101
	v_mul_f32_e32 v106, v92, v23
	v_mul_f32_e32 v107, v91, v23
	v_fmac_f32_e32 v105, v55, v20
	v_add_f32_e32 v40, v40, v48
	v_add_f32_e32 v54, v54, v103
	v_mul_f32_e32 v108, v94, v17
	v_mul_f32_e32 v109, v93, v17
	v_fma_f32 v50, v91, v22, -v106
	v_fmac_f32_e32 v107, v92, v22
	v_add_f32_e32 v40, v40, v49
	v_add_f32_e32 v54, v54, v105
	s_waitcnt lgkmcnt(0)
	v_mul_f32_e32 v110, v96, v19
	v_mul_f32_e32 v111, v95, v19
	v_fma_f32 v51, v93, v16, -v108
	v_fmac_f32_e32 v109, v94, v16
	v_add_f32_e32 v40, v40, v50
	v_add_f32_e32 v54, v54, v107
	v_mul_f32_e32 v112, v98, v33
	v_mul_f32_e32 v113, v97, v33
	v_fma_f32 v52, v95, v18, -v110
	v_fmac_f32_e32 v111, v96, v18
	v_fma_f32 v39, v39, v34, -v114
	v_add_f32_e32 v40, v40, v51
	v_add_f32_e32 v54, v54, v109
	v_fma_f32 v53, v97, v32, -v112
	v_fmac_f32_e32 v113, v98, v32
	v_add_f32_e32 v55, v41, v39
	v_sub_f32_e32 v41, v41, v39
	v_add_f32_e32 v40, v40, v52
	v_add_f32_e32 v54, v54, v111
	v_mul_f32_e32 v92, 0xbf0a6770, v41
	v_add_f32_e32 v40, v40, v53
	v_add_f32_e32 v54, v54, v113
	v_mul_f32_e32 v96, 0xbf68dda4, v41
	v_mul_f32_e32 v102, 0xbf7d64f0, v41
	;; [unrolled: 1-line block ×4, first 2 shown]
	v_add_f32_e32 v82, v81, v115
	v_sub_f32_e32 v81, v81, v115
	v_mov_b32_e32 v95, v92
	v_add_f32_e32 v39, v40, v39
	v_add_f32_e32 v40, v54, v115
	v_mov_b32_e32 v97, v96
	v_mov_b32_e32 v104, v102
	;; [unrolled: 1-line block ×4, first 2 shown]
	v_mul_f32_e32 v91, 0xbf0a6770, v81
	v_mul_f32_e32 v93, 0xbf68dda4, v81
	v_fma_f32 v92, v82, s11, -v92
	v_fmac_f32_e32 v95, 0x3f575c64, v82
	v_fmac_f32_e32 v97, 0x3ed4b147, v82
	v_fma_f32 v96, v82, s10, -v96
	v_mul_f32_e32 v98, 0xbf7d64f0, v81
	v_fmac_f32_e32 v104, 0xbe11bafb, v82
	v_fma_f32 v102, v82, s12, -v102
	v_mul_f32_e32 v106, 0xbf4178ce, v81
	;; [unrolled: 3-line block ×3, first 2 shown]
	v_fmac_f32_e32 v115, 0xbf75a155, v82
	v_fma_f32 v41, v82, s14, -v41
	v_fma_f32 v94, v55, s11, -v91
	v_fmac_f32_e32 v91, 0x3f575c64, v55
	v_add_f32_e32 v92, v45, v92
	v_add_f32_e32 v95, v45, v95
	v_fma_f32 v54, v55, s10, -v93
	v_add_f32_e32 v97, v45, v97
	v_fmac_f32_e32 v93, 0x3ed4b147, v55
	v_add_f32_e32 v96, v45, v96
	v_fma_f32 v100, v55, s12, -v98
	v_add_f32_e32 v104, v45, v104
	v_fmac_f32_e32 v98, 0xbe11bafb, v55
	;; [unrolled: 4-line block ×4, first 2 shown]
	v_add_f32_e32 v41, v45, v41
	v_add_f32_e32 v45, v46, v53
	v_sub_f32_e32 v46, v46, v53
	v_sub_f32_e32 v53, v99, v113
	v_add_f32_e32 v94, v44, v94
	v_add_f32_e32 v91, v44, v91
	;; [unrolled: 1-line block ×10, first 2 shown]
	v_mul_f32_e32 v81, 0xbf68dda4, v53
	v_fma_f32 v82, v45, s10, -v81
	v_add_f32_e32 v55, v99, v113
	v_add_f32_e32 v82, v82, v94
	v_mul_f32_e32 v94, 0xbf68dda4, v46
	v_fmac_f32_e32 v81, 0x3ed4b147, v45
	v_add_f32_e32 v81, v81, v91
	v_fma_f32 v91, v55, s10, -v94
	v_add_f32_e32 v91, v91, v92
	v_mul_f32_e32 v92, 0xbf4178ce, v53
	v_mov_b32_e32 v99, v94
	v_fma_f32 v94, v45, s13, -v92
	v_fmac_f32_e32 v99, 0x3ed4b147, v55
	v_add_f32_e32 v54, v94, v54
	v_mul_f32_e32 v94, 0xbf4178ce, v46
	v_add_f32_e32 v95, v99, v95
	v_mov_b32_e32 v99, v94
	v_fmac_f32_e32 v92, 0xbf27a4f4, v45
	v_fmac_f32_e32 v99, 0xbf27a4f4, v55
	v_add_f32_e32 v92, v92, v93
	v_fma_f32 v93, v55, s13, -v94
	v_mul_f32_e32 v94, 0x3e903f40, v53
	v_add_f32_e32 v97, v99, v97
	v_add_f32_e32 v93, v93, v96
	v_fma_f32 v96, v45, s14, -v94
	v_mul_f32_e32 v99, 0x3e903f40, v46
	v_add_f32_e32 v96, v96, v100
	v_mov_b32_e32 v100, v99
	v_fmac_f32_e32 v94, 0xbf75a155, v45
	v_fmac_f32_e32 v100, 0xbf75a155, v55
	v_add_f32_e32 v94, v94, v98
	v_fma_f32 v98, v55, s14, -v99
	v_mul_f32_e32 v99, 0x3f7d64f0, v53
	v_add_f32_e32 v100, v100, v104
	v_add_f32_e32 v98, v98, v102
	v_fma_f32 v102, v45, s12, -v99
	v_mul_f32_e32 v104, 0x3f7d64f0, v46
	v_fmac_f32_e32 v99, 0xbe11bafb, v45
	v_mul_f32_e32 v53, 0x3f0a6770, v53
	v_mul_f32_e32 v46, 0x3f0a6770, v46
	v_add_f32_e32 v99, v99, v106
	v_fma_f32 v106, v45, s11, -v53
	v_fmac_f32_e32 v53, 0x3f575c64, v45
	v_fma_f32 v45, v55, s11, -v46
	v_add_f32_e32 v102, v102, v108
	v_mov_b32_e32 v108, v104
	v_fma_f32 v104, v55, s12, -v104
	v_add_f32_e32 v41, v45, v41
	v_add_f32_e32 v45, v47, v52
	v_sub_f32_e32 v47, v47, v52
	v_sub_f32_e32 v52, v101, v111
	v_add_f32_e32 v104, v104, v110
	v_mov_b32_e32 v110, v46
	v_add_f32_e32 v44, v53, v44
	v_mul_f32_e32 v53, 0xbf7d64f0, v52
	v_fmac_f32_e32 v108, 0xbe11bafb, v55
	v_fmac_f32_e32 v110, 0x3f575c64, v55
	v_fma_f32 v55, v45, s12, -v53
	v_add_f32_e32 v46, v101, v111
	v_add_f32_e32 v55, v55, v82
	v_mul_f32_e32 v82, 0xbf7d64f0, v47
	v_fmac_f32_e32 v53, 0xbe11bafb, v45
	v_mov_b32_e32 v101, v82
	v_add_f32_e32 v53, v53, v81
	v_fma_f32 v81, v46, s12, -v82
	v_mul_f32_e32 v82, 0x3e903f40, v52
	v_add_f32_e32 v81, v81, v91
	v_fma_f32 v91, v45, s14, -v82
	v_fmac_f32_e32 v101, 0xbe11bafb, v46
	v_add_f32_e32 v54, v91, v54
	v_mul_f32_e32 v91, 0x3e903f40, v47
	v_fmac_f32_e32 v82, 0xbf75a155, v45
	v_add_f32_e32 v95, v101, v95
	v_mov_b32_e32 v101, v91
	v_add_f32_e32 v82, v82, v92
	v_fma_f32 v91, v46, s14, -v91
	v_mul_f32_e32 v92, 0x3f68dda4, v52
	v_add_f32_e32 v91, v91, v93
	v_fma_f32 v93, v45, s10, -v92
	v_fmac_f32_e32 v101, 0xbf75a155, v46
	v_add_f32_e32 v93, v93, v96
	v_mul_f32_e32 v96, 0x3f68dda4, v47
	v_add_f32_e32 v97, v101, v97
	v_mov_b32_e32 v101, v96
	v_fmac_f32_e32 v92, 0x3ed4b147, v45
	v_fmac_f32_e32 v101, 0x3ed4b147, v46
	v_add_f32_e32 v92, v92, v94
	v_fma_f32 v94, v46, s10, -v96
	v_mul_f32_e32 v96, 0xbf0a6770, v52
	v_add_f32_e32 v100, v101, v100
	v_add_f32_e32 v94, v94, v98
	v_fma_f32 v98, v45, s11, -v96
	v_mul_f32_e32 v101, 0xbf0a6770, v47
	v_fmac_f32_e32 v96, 0x3f575c64, v45
	v_mul_f32_e32 v52, 0xbf4178ce, v52
	v_mul_f32_e32 v47, 0xbf4178ce, v47
	v_add_f32_e32 v98, v98, v102
	v_mov_b32_e32 v102, v101
	v_add_f32_e32 v96, v96, v99
	v_fma_f32 v99, v46, s11, -v101
	v_fma_f32 v101, v45, s13, -v52
	v_fmac_f32_e32 v52, 0xbf27a4f4, v45
	v_fma_f32 v45, v46, s13, -v47
	v_add_f32_e32 v99, v99, v104
	v_mov_b32_e32 v104, v47
	v_add_f32_e32 v41, v45, v41
	v_add_f32_e32 v45, v48, v51
	v_sub_f32_e32 v47, v48, v51
	v_sub_f32_e32 v48, v103, v109
	v_mul_f32_e32 v51, 0xbf4178ce, v48
	v_add_f32_e32 v44, v52, v44
	v_fma_f32 v52, v45, s13, -v51
	v_fmac_f32_e32 v102, 0x3f575c64, v46
	v_fmac_f32_e32 v104, 0xbf27a4f4, v46
	v_add_f32_e32 v46, v103, v109
	v_add_f32_e32 v52, v52, v55
	v_mul_f32_e32 v55, 0xbf4178ce, v47
	v_fmac_f32_e32 v51, 0xbf27a4f4, v45
	v_mov_b32_e32 v103, v55
	v_add_f32_e32 v51, v51, v53
	v_fma_f32 v53, v46, s13, -v55
	v_mul_f32_e32 v55, 0x3f7d64f0, v48
	v_add_f32_e32 v53, v53, v81
	v_fma_f32 v81, v45, s12, -v55
	v_fmac_f32_e32 v103, 0xbf27a4f4, v46
	v_add_f32_e32 v54, v81, v54
	v_mul_f32_e32 v81, 0x3f7d64f0, v47
	v_fmac_f32_e32 v55, 0xbe11bafb, v45
	v_add_f32_e32 v95, v103, v95
	v_mov_b32_e32 v103, v81
	v_add_f32_e32 v55, v55, v82
	v_fma_f32 v81, v46, s12, -v81
	v_mul_f32_e32 v82, 0xbf0a6770, v48
	v_add_f32_e32 v81, v81, v91
	v_fma_f32 v91, v45, s11, -v82
	v_fmac_f32_e32 v103, 0xbe11bafb, v46
	v_add_f32_e32 v91, v91, v93
	v_mul_f32_e32 v93, 0xbf0a6770, v47
	v_fmac_f32_e32 v82, 0x3f575c64, v45
	v_add_f32_e32 v97, v103, v97
	v_mov_b32_e32 v103, v93
	v_add_f32_e32 v82, v82, v92
	v_fma_f32 v92, v46, s11, -v93
	v_mul_f32_e32 v93, 0xbe903f40, v48
	v_add_f32_e32 v92, v92, v94
	v_fma_f32 v94, v45, s14, -v93
	v_add_f32_e32 v94, v94, v98
	v_mul_f32_e32 v98, 0xbe903f40, v47
	v_fmac_f32_e32 v93, 0xbf75a155, v45
	v_add_f32_e32 v93, v93, v96
	v_fma_f32 v96, v46, s14, -v98
	v_mul_f32_e32 v47, 0x3f68dda4, v47
	v_add_f32_e32 v110, v110, v115
	v_fmac_f32_e32 v103, 0x3f575c64, v46
	v_add_f32_e32 v96, v96, v99
	v_mov_b32_e32 v99, v47
	v_add_f32_e32 v108, v108, v112
	v_add_f32_e32 v104, v104, v110
	;; [unrolled: 1-line block ×3, first 2 shown]
	v_mov_b32_e32 v103, v98
	v_fmac_f32_e32 v99, 0x3ed4b147, v46
	v_add_f32_e32 v106, v106, v114
	v_add_f32_e32 v102, v102, v108
	v_fmac_f32_e32 v103, 0xbf75a155, v46
	v_mul_f32_e32 v48, 0x3f68dda4, v48
	v_add_f32_e32 v99, v99, v104
	v_add_f32_e32 v104, v105, v107
	v_sub_f32_e32 v105, v105, v107
	v_add_f32_e32 v101, v101, v106
	v_add_f32_e32 v102, v103, v102
	v_fma_f32 v98, v45, s10, -v48
	v_fmac_f32_e32 v48, 0x3ed4b147, v45
	v_add_f32_e32 v103, v49, v50
	v_sub_f32_e32 v106, v49, v50
	v_mul_f32_e32 v50, 0x3f0a6770, v105
	v_add_f32_e32 v98, v98, v101
	v_add_f32_e32 v101, v48, v44
	v_fma_f32 v44, v46, s10, -v47
	v_mul_f32_e32 v47, 0xbe903f40, v106
	v_fma_f32 v48, v103, s11, -v50
	v_fmac_f32_e32 v50, 0x3f575c64, v103
	v_mul_f32_e32 v46, 0xbe903f40, v105
	v_mov_b32_e32 v45, v47
	v_fma_f32 v47, v104, s14, -v47
	v_add_f32_e32 v50, v50, v55
	v_mul_f32_e32 v55, 0xbf4178ce, v106
	v_add_f32_e32 v41, v44, v41
	v_fma_f32 v44, v103, s14, -v46
	v_fmac_f32_e32 v46, 0xbf75a155, v103
	v_add_f32_e32 v47, v47, v53
	v_add_f32_e32 v48, v48, v54
	v_mul_f32_e32 v54, 0xbf4178ce, v105
	v_mov_b32_e32 v53, v55
	v_fma_f32 v55, v104, s13, -v55
	v_add_f32_e32 v44, v44, v52
	v_add_f32_e32 v46, v46, v51
	v_mul_f32_e32 v51, 0x3f0a6770, v106
	v_fma_f32 v52, v103, s13, -v54
	v_fmac_f32_e32 v54, 0xbf27a4f4, v103
	v_add_f32_e32 v55, v55, v92
	v_mul_f32_e32 v92, 0x3f68dda4, v106
	v_mov_b32_e32 v49, v51
	v_fma_f32 v51, v104, s11, -v51
	v_add_f32_e32 v52, v52, v91
	v_add_f32_e32 v54, v54, v82
	v_mul_f32_e32 v91, 0x3f68dda4, v105
	v_mov_b32_e32 v82, v92
	v_fma_f32 v92, v104, s10, -v92
	v_fmac_f32_e32 v45, 0xbf75a155, v104
	v_add_f32_e32 v51, v51, v81
	v_fma_f32 v81, v103, s10, -v91
	v_add_f32_e32 v92, v92, v96
	v_mul_f32_e32 v96, 0xbf7d64f0, v106
	v_add_f32_e32 v45, v45, v95
	v_add_f32_e32 v81, v81, v94
	v_fmac_f32_e32 v91, 0x3ed4b147, v103
	v_mul_f32_e32 v95, 0xbf7d64f0, v105
	v_mov_b32_e32 v94, v96
	v_fmac_f32_e32 v49, 0x3f575c64, v104
	v_fmac_f32_e32 v53, 0xbf27a4f4, v104
	v_fmac_f32_e32 v82, 0x3ed4b147, v104
	v_add_f32_e32 v91, v91, v93
	v_fma_f32 v93, v103, s12, -v95
	v_fmac_f32_e32 v94, 0xbe11bafb, v104
	v_fmac_f32_e32 v95, 0xbe11bafb, v103
	v_fma_f32 v96, v104, s12, -v96
	v_add_f32_e32 v49, v49, v97
	v_add_f32_e32 v53, v53, v100
	;; [unrolled: 1-line block ×7, first 2 shown]
	ds_write2_b64 v83, v[39:40], v[44:45] offset1:33
	ds_write2_b64 v83, v[48:49], v[52:53] offset0:66 offset1:99
	ds_write2_b64 v83, v[81:82], v[93:94] offset0:132 offset1:165
	;; [unrolled: 1-line block ×4, first 2 shown]
	ds_write_b64 v83, v[46:47] offset:2640
	s_waitcnt lgkmcnt(0)
	s_barrier
	global_load_dwordx2 v[36:37], v[36:37], off offset:2904
	s_nop 0
	global_load_dwordx2 v[48:49], v42, s[6:7] offset:264
	global_load_dwordx2 v[50:51], v42, s[6:7] offset:528
	;; [unrolled: 1-line block ×10, first 2 shown]
	ds_read2_b64 v[39:42], v83 offset1:33
	s_waitcnt vmcnt(10) lgkmcnt(0)
	v_mul_f32_e32 v44, v40, v37
	v_fma_f32 v101, v39, v36, -v44
	ds_read2_b64 v[44:47], v83 offset0:66 offset1:99
	v_mul_f32_e32 v102, v39, v37
	v_fmac_f32_e32 v102, v40, v36
	s_waitcnt vmcnt(9)
	v_mul_f32_e32 v36, v42, v49
	v_mul_f32_e32 v37, v41, v49
	v_fma_f32 v36, v41, v48, -v36
	v_fmac_f32_e32 v37, v42, v48
	ds_read2_b64 v[39:42], v83 offset0:132 offset1:165
	ds_write2_b64 v83, v[101:102], v[36:37] offset1:33
	s_waitcnt vmcnt(8) lgkmcnt(2)
	v_mul_f32_e32 v36, v45, v51
	v_mul_f32_e32 v37, v44, v51
	v_fma_f32 v36, v44, v50, -v36
	v_fmac_f32_e32 v37, v45, v50
	s_waitcnt vmcnt(7)
	v_mul_f32_e32 v44, v47, v53
	v_mul_f32_e32 v45, v46, v53
	v_fma_f32 v44, v46, v52, -v44
	v_fmac_f32_e32 v45, v47, v52
	ds_write2_b64 v83, v[36:37], v[44:45] offset0:66 offset1:99
	s_waitcnt vmcnt(6) lgkmcnt(2)
	v_mul_f32_e32 v36, v40, v55
	v_mul_f32_e32 v37, v39, v55
	ds_read2_b64 v[44:47], v83 offset0:198 offset1:231
	v_fma_f32 v36, v39, v54, -v36
	v_fmac_f32_e32 v37, v40, v54
	s_waitcnt vmcnt(5)
	v_mul_f32_e32 v39, v42, v82
	v_mul_f32_e32 v40, v41, v82
	v_fma_f32 v39, v41, v81, -v39
	v_fmac_f32_e32 v40, v42, v81
	ds_write2_b64 v83, v[36:37], v[39:40] offset0:132 offset1:165
	ds_read2_b64 v[39:42], v38 offset0:8 offset1:41
	s_waitcnt vmcnt(4) lgkmcnt(2)
	v_mul_f32_e32 v36, v45, v92
	v_mul_f32_e32 v37, v44, v92
	v_fma_f32 v36, v44, v91, -v36
	v_fmac_f32_e32 v37, v45, v91
	s_waitcnt vmcnt(3)
	v_mul_f32_e32 v44, v47, v94
	v_mul_f32_e32 v45, v46, v94
	v_fma_f32 v44, v46, v93, -v44
	v_fmac_f32_e32 v45, v47, v93
	ds_write2_b64 v83, v[36:37], v[44:45] offset0:198 offset1:231
	s_waitcnt vmcnt(2) lgkmcnt(1)
	v_mul_f32_e32 v36, v40, v96
	v_mul_f32_e32 v37, v39, v96
	v_fma_f32 v36, v39, v95, -v36
	v_fmac_f32_e32 v37, v40, v95
	ds_read_b64 v[39:40], v83 offset:2640
	s_waitcnt vmcnt(1)
	v_mul_f32_e32 v44, v42, v98
	v_mul_f32_e32 v45, v41, v98
	v_fma_f32 v44, v41, v97, -v44
	v_fmac_f32_e32 v45, v42, v97
	ds_write2_b64 v38, v[36:37], v[44:45] offset0:8 offset1:41
	s_waitcnt vmcnt(0) lgkmcnt(1)
	v_mul_f32_e32 v36, v40, v100
	v_mul_f32_e32 v37, v39, v100
	v_fma_f32 v36, v39, v99, -v36
	v_fmac_f32_e32 v37, v40, v99
	ds_write_b64 v83, v[36:37] offset:2640
	s_waitcnt lgkmcnt(0)
	s_barrier
	ds_read2_b64 v[39:42], v83 offset1:33
	ds_read2_b64 v[44:47], v83 offset0:66 offset1:99
	ds_read2_b64 v[48:51], v83 offset0:132 offset1:165
	;; [unrolled: 1-line block ×4, first 2 shown]
	ds_read_b64 v[36:37], v83 offset:2640
	s_waitcnt lgkmcnt(5)
	v_add_f32_e32 v81, v40, v42
	v_add_f32_e32 v38, v39, v41
	s_waitcnt lgkmcnt(4)
	v_add_f32_e32 v81, v81, v45
	v_add_f32_e32 v38, v38, v44
	v_add_f32_e32 v81, v81, v47
	v_add_f32_e32 v38, v38, v46
	s_waitcnt lgkmcnt(3)
	v_add_f32_e32 v81, v81, v49
	v_add_f32_e32 v38, v38, v48
	;; [unrolled: 5-line block ×4, first 2 shown]
	v_add_f32_e32 v82, v81, v94
	s_waitcnt lgkmcnt(0)
	v_add_f32_e32 v95, v37, v42
	v_add_f32_e32 v38, v38, v93
	v_add_f32_e32 v82, v82, v37
	v_sub_f32_e32 v37, v42, v37
	v_mul_f32_e32 v96, 0x3f575c64, v95
	v_mul_f32_e32 v100, 0x3ed4b147, v95
	;; [unrolled: 1-line block ×5, first 2 shown]
	v_add_f32_e32 v81, v38, v36
	v_add_f32_e32 v38, v36, v41
	v_sub_f32_e32 v36, v41, v36
	v_mul_f32_e32 v41, 0xbf0a6770, v37
	v_mov_b32_e32 v97, v96
	v_mul_f32_e32 v98, 0xbf68dda4, v37
	v_mov_b32_e32 v101, v100
	;; [unrolled: 2-line block ×5, first 2 shown]
	v_mov_b32_e32 v42, v41
	v_fmac_f32_e32 v97, 0x3f0a6770, v36
	v_fmac_f32_e32 v96, 0xbf0a6770, v36
	v_mov_b32_e32 v99, v98
	v_fmac_f32_e32 v101, 0x3f68dda4, v36
	v_fmac_f32_e32 v100, 0xbf68dda4, v36
	;; [unrolled: 3-line block ×5, first 2 shown]
	v_fmac_f32_e32 v42, 0x3f575c64, v38
	v_add_f32_e32 v97, v40, v97
	v_fma_f32 v41, v38, s11, -v41
	v_add_f32_e32 v96, v40, v96
	v_fmac_f32_e32 v99, 0x3ed4b147, v38
	v_add_f32_e32 v101, v40, v101
	v_fma_f32 v98, v38, s10, -v98
	v_add_f32_e32 v100, v40, v100
	;; [unrolled: 4-line block ×5, first 2 shown]
	v_add_f32_e32 v38, v93, v44
	v_sub_f32_e32 v40, v44, v93
	v_sub_f32_e32 v44, v45, v94
	v_add_f32_e32 v42, v39, v42
	v_add_f32_e32 v41, v39, v41
	v_add_f32_e32 v99, v39, v99
	v_add_f32_e32 v98, v39, v98
	v_add_f32_e32 v103, v39, v103
	v_add_f32_e32 v102, v39, v102
	v_add_f32_e32 v107, v39, v107
	v_add_f32_e32 v106, v39, v106
	v_add_f32_e32 v110, v39, v110
	v_add_f32_e32 v37, v39, v37
	v_add_f32_e32 v39, v94, v45
	v_mul_f32_e32 v45, 0xbf68dda4, v44
	v_mov_b32_e32 v93, v45
	v_fmac_f32_e32 v93, 0x3ed4b147, v38
	v_add_f32_e32 v42, v93, v42
	v_mul_f32_e32 v93, 0x3ed4b147, v39
	v_mov_b32_e32 v94, v93
	v_fma_f32 v45, v38, s10, -v45
	v_fmac_f32_e32 v93, 0xbf68dda4, v40
	v_add_f32_e32 v41, v45, v41
	v_add_f32_e32 v45, v93, v96
	v_mul_f32_e32 v93, 0xbf4178ce, v44
	v_mov_b32_e32 v95, v93
	v_fma_f32 v93, v38, s13, -v93
	v_fmac_f32_e32 v94, 0x3f68dda4, v40
	v_fmac_f32_e32 v95, 0xbf27a4f4, v38
	v_mul_f32_e32 v96, 0xbf27a4f4, v39
	v_add_f32_e32 v93, v93, v98
	v_mul_f32_e32 v98, 0x3e903f40, v44
	v_add_f32_e32 v94, v94, v97
	v_add_f32_e32 v95, v95, v99
	v_mov_b32_e32 v97, v96
	v_fmac_f32_e32 v96, 0xbf4178ce, v40
	v_mov_b32_e32 v99, v98
	v_fma_f32 v98, v38, s14, -v98
	v_fmac_f32_e32 v97, 0x3f4178ce, v40
	v_add_f32_e32 v96, v96, v100
	v_fmac_f32_e32 v99, 0xbf75a155, v38
	v_mul_f32_e32 v100, 0xbf75a155, v39
	v_add_f32_e32 v98, v98, v102
	v_mul_f32_e32 v102, 0x3f7d64f0, v44
	v_add_f32_e32 v97, v97, v101
	v_add_f32_e32 v99, v99, v103
	v_mov_b32_e32 v101, v100
	v_fmac_f32_e32 v100, 0x3e903f40, v40
	v_mov_b32_e32 v103, v102
	v_fma_f32 v102, v38, s12, -v102
	v_mul_f32_e32 v44, 0x3f0a6770, v44
	v_fmac_f32_e32 v101, 0xbe903f40, v40
	v_add_f32_e32 v100, v100, v104
	v_fmac_f32_e32 v103, 0xbe11bafb, v38
	v_mul_f32_e32 v104, 0xbe11bafb, v39
	v_add_f32_e32 v102, v102, v106
	v_mov_b32_e32 v106, v44
	v_mul_f32_e32 v39, 0x3f575c64, v39
	v_add_f32_e32 v101, v101, v105
	v_add_f32_e32 v103, v103, v107
	v_mov_b32_e32 v105, v104
	v_fmac_f32_e32 v106, 0x3f575c64, v38
	v_mov_b32_e32 v107, v39
	v_fma_f32 v38, v38, s11, -v44
	v_sub_f32_e32 v44, v47, v92
	v_fmac_f32_e32 v105, 0xbf7d64f0, v40
	v_fmac_f32_e32 v104, 0x3f7d64f0, v40
	v_fmac_f32_e32 v107, 0xbf0a6770, v40
	v_add_f32_e32 v37, v38, v37
	v_fmac_f32_e32 v39, 0x3f0a6770, v40
	v_add_f32_e32 v38, v91, v46
	v_sub_f32_e32 v40, v46, v91
	v_mul_f32_e32 v46, 0xbf7d64f0, v44
	v_add_f32_e32 v36, v39, v36
	v_add_f32_e32 v39, v92, v47
	v_mov_b32_e32 v47, v46
	v_fmac_f32_e32 v47, 0xbe11bafb, v38
	v_add_f32_e32 v42, v47, v42
	v_mul_f32_e32 v47, 0xbe11bafb, v39
	v_fma_f32 v46, v38, s12, -v46
	v_mov_b32_e32 v91, v47
	v_add_f32_e32 v41, v46, v41
	v_fmac_f32_e32 v47, 0xbf7d64f0, v40
	v_mul_f32_e32 v46, 0x3e903f40, v44
	v_add_f32_e32 v45, v47, v45
	v_mov_b32_e32 v47, v46
	v_fma_f32 v46, v38, s14, -v46
	v_fmac_f32_e32 v91, 0x3f7d64f0, v40
	v_fmac_f32_e32 v47, 0xbf75a155, v38
	v_mul_f32_e32 v92, 0xbf75a155, v39
	v_add_f32_e32 v46, v46, v93
	v_mul_f32_e32 v93, 0x3f68dda4, v44
	v_add_f32_e32 v91, v91, v94
	v_add_f32_e32 v47, v47, v95
	v_mov_b32_e32 v94, v92
	v_fmac_f32_e32 v92, 0x3e903f40, v40
	v_mov_b32_e32 v95, v93
	v_fma_f32 v93, v38, s10, -v93
	v_fmac_f32_e32 v94, 0xbe903f40, v40
	v_add_f32_e32 v92, v92, v96
	v_fmac_f32_e32 v95, 0x3ed4b147, v38
	v_mul_f32_e32 v96, 0x3ed4b147, v39
	v_add_f32_e32 v93, v93, v98
	v_mul_f32_e32 v98, 0xbf0a6770, v44
	v_add_f32_e32 v94, v94, v97
	v_add_f32_e32 v95, v95, v99
	v_mov_b32_e32 v97, v96
	v_fmac_f32_e32 v96, 0x3f68dda4, v40
	v_mov_b32_e32 v99, v98
	v_fma_f32 v98, v38, s11, -v98
	v_mul_f32_e32 v44, 0xbf4178ce, v44
	v_fmac_f32_e32 v97, 0xbf68dda4, v40
	v_add_f32_e32 v96, v96, v100
	v_fmac_f32_e32 v99, 0x3f575c64, v38
	v_mul_f32_e32 v100, 0x3f575c64, v39
	v_add_f32_e32 v98, v98, v102
	v_mov_b32_e32 v102, v44
	v_mul_f32_e32 v39, 0xbf27a4f4, v39
	v_add_f32_e32 v97, v97, v101
	v_add_f32_e32 v99, v99, v103
	v_mov_b32_e32 v101, v100
	v_fmac_f32_e32 v102, 0xbf27a4f4, v38
	v_mov_b32_e32 v103, v39
	v_fma_f32 v38, v38, s13, -v44
	v_sub_f32_e32 v44, v49, v55
	v_fmac_f32_e32 v101, 0x3f0a6770, v40
	v_fmac_f32_e32 v100, 0xbf0a6770, v40
	;; [unrolled: 1-line block ×3, first 2 shown]
	v_add_f32_e32 v37, v38, v37
	v_fmac_f32_e32 v39, 0xbf4178ce, v40
	v_add_f32_e32 v38, v54, v48
	v_sub_f32_e32 v40, v48, v54
	v_mul_f32_e32 v48, 0xbf4178ce, v44
	v_add_f32_e32 v36, v39, v36
	v_add_f32_e32 v39, v55, v49
	v_mov_b32_e32 v49, v48
	v_fmac_f32_e32 v49, 0xbf27a4f4, v38
	v_add_f32_e32 v42, v49, v42
	v_mul_f32_e32 v49, 0xbf27a4f4, v39
	v_fma_f32 v48, v38, s13, -v48
	v_mov_b32_e32 v54, v49
	v_add_f32_e32 v48, v48, v41
	v_fmac_f32_e32 v49, 0xbf4178ce, v40
	v_mul_f32_e32 v41, 0x3f7d64f0, v44
	v_add_f32_e32 v45, v49, v45
	v_mov_b32_e32 v49, v41
	v_fma_f32 v41, v38, s12, -v41
	v_fmac_f32_e32 v54, 0x3f4178ce, v40
	v_add_f32_e32 v46, v41, v46
	v_mul_f32_e32 v41, 0xbf0a6770, v44
	v_add_f32_e32 v54, v54, v91
	v_fmac_f32_e32 v49, 0xbe11bafb, v38
	v_mov_b32_e32 v91, v41
	v_fma_f32 v41, v38, s11, -v41
	v_add_f32_e32 v47, v49, v47
	v_mul_f32_e32 v49, 0xbe11bafb, v39
	v_fmac_f32_e32 v91, 0x3f575c64, v38
	v_add_f32_e32 v93, v41, v93
	v_mul_f32_e32 v41, 0xbe903f40, v44
	v_mov_b32_e32 v55, v49
	v_fmac_f32_e32 v49, 0x3f7d64f0, v40
	v_add_f32_e32 v91, v91, v95
	v_mov_b32_e32 v95, v41
	v_fma_f32 v41, v38, s14, -v41
	v_fmac_f32_e32 v55, 0xbf7d64f0, v40
	v_add_f32_e32 v49, v49, v92
	v_mul_f32_e32 v92, 0x3f575c64, v39
	v_add_f32_e32 v98, v41, v98
	v_mul_f32_e32 v41, 0x3f68dda4, v44
	v_add_f32_e32 v106, v106, v110
	v_add_f32_e32 v55, v55, v94
	v_mov_b32_e32 v94, v92
	v_fmac_f32_e32 v92, 0xbf0a6770, v40
	v_mov_b32_e32 v44, v41
	v_add_f32_e32 v102, v102, v106
	v_fmac_f32_e32 v94, 0x3f0a6770, v40
	v_add_f32_e32 v92, v92, v96
	v_fmac_f32_e32 v95, 0xbf75a155, v38
	v_mul_f32_e32 v96, 0xbf75a155, v39
	v_fmac_f32_e32 v44, 0x3ed4b147, v38
	v_mul_f32_e32 v39, 0x3ed4b147, v39
	v_add_f32_e32 v105, v105, v109
	v_add_f32_e32 v104, v104, v108
	;; [unrolled: 1-line block ×5, first 2 shown]
	v_mov_b32_e32 v97, v96
	v_add_f32_e32 v99, v44, v102
	v_mov_b32_e32 v44, v39
	v_fmac_f32_e32 v39, 0x3f68dda4, v40
	v_sub_f32_e32 v106, v51, v53
	v_add_f32_e32 v101, v101, v105
	v_add_f32_e32 v100, v100, v104
	;; [unrolled: 1-line block ×3, first 2 shown]
	v_fmac_f32_e32 v97, 0x3e903f40, v40
	v_fmac_f32_e32 v96, 0xbe903f40, v40
	;; [unrolled: 1-line block ×3, first 2 shown]
	v_fma_f32 v38, v38, s10, -v41
	v_add_f32_e32 v102, v39, v36
	v_mul_f32_e32 v36, 0xbe903f40, v106
	v_add_f32_e32 v97, v97, v101
	v_add_f32_e32 v96, v96, v100
	;; [unrolled: 1-line block ×5, first 2 shown]
	v_mov_b32_e32 v37, v36
	v_add_f32_e32 v104, v53, v51
	v_fmac_f32_e32 v37, 0xbf75a155, v103
	v_add_f32_e32 v40, v37, v42
	v_mul_f32_e32 v37, 0xbf75a155, v104
	v_sub_f32_e32 v105, v50, v52
	v_mov_b32_e32 v38, v37
	v_fmac_f32_e32 v38, 0x3e903f40, v105
	v_fma_f32 v36, v103, s14, -v36
	v_add_f32_e32 v41, v38, v54
	v_add_f32_e32 v38, v36, v48
	v_fmac_f32_e32 v37, 0xbe903f40, v105
	v_mul_f32_e32 v36, 0x3f0a6770, v106
	v_add_f32_e32 v39, v37, v45
	v_mov_b32_e32 v37, v36
	v_fmac_f32_e32 v37, 0x3f575c64, v103
	v_add_f32_e32 v44, v37, v47
	v_mul_f32_e32 v37, 0x3f575c64, v104
	v_mov_b32_e32 v42, v37
	v_fmac_f32_e32 v42, 0xbf0a6770, v105
	v_add_f32_e32 v45, v42, v55
	v_fma_f32 v36, v103, s11, -v36
	v_mul_f32_e32 v42, 0xbf4178ce, v106
	v_add_f32_e32 v36, v36, v46
	v_fmac_f32_e32 v37, 0x3f0a6770, v105
	v_mov_b32_e32 v46, v42
	v_fma_f32 v42, v103, s13, -v42
	v_add_f32_e32 v37, v37, v49
	v_mul_f32_e32 v49, 0xbf27a4f4, v104
	v_add_f32_e32 v48, v42, v93
	v_mul_f32_e32 v42, 0x3f68dda4, v106
	v_mov_b32_e32 v47, v49
	v_fmac_f32_e32 v49, 0xbf4178ce, v105
	v_mov_b32_e32 v50, v42
	v_fma_f32 v42, v103, s10, -v42
	v_add_f32_e32 v49, v49, v92
	v_mul_f32_e32 v53, 0x3ed4b147, v104
	v_add_f32_e32 v52, v42, v98
	v_mul_f32_e32 v42, 0xbf7d64f0, v106
	v_mul_f32_e32 v92, 0xbe11bafb, v104
	v_mov_b32_e32 v51, v53
	v_mov_b32_e32 v54, v42
	;; [unrolled: 1-line block ×3, first 2 shown]
	v_fmac_f32_e32 v46, 0xbf27a4f4, v103
	v_fmac_f32_e32 v47, 0x3f4178ce, v105
	;; [unrolled: 1-line block ×7, first 2 shown]
	v_fma_f32 v42, v103, s12, -v42
	v_fmac_f32_e32 v92, 0xbf7d64f0, v105
	v_add_f32_e32 v46, v46, v91
	v_add_f32_e32 v47, v47, v94
	;; [unrolled: 1-line block ×9, first 2 shown]
	s_barrier
	ds_write2_b64 v43, v[81:82], v[40:41] offset1:1
	ds_write2_b64 v43, v[44:45], v[46:47] offset0:2 offset1:3
	ds_write2_b64 v43, v[50:51], v[54:55] offset0:4 offset1:5
	;; [unrolled: 1-line block ×4, first 2 shown]
	ds_write_b64 v43, v[38:39] offset:80
	v_add_u32_e32 v48, 0x400, v83
	s_waitcnt lgkmcnt(0)
	s_barrier
	ds_read2_b64 v[44:47], v83 offset1:33
	ds_read2_b64 v[40:43], v83 offset0:66 offset1:121
	ds_read2_b64 v[52:55], v48 offset0:114 offset1:147
	;; [unrolled: 1-line block ×3, first 2 shown]
	ds_read_b64 v[81:82], v83 offset:2464
	s_and_saveexec_b64 s[6:7], vcc
	s_cbranch_execz .LBB0_7
; %bb.6:
	ds_read2_b64 v[36:39], v83 offset0:99 offset1:220
	ds_read_b64 v[79:80], v83 offset:2728
.LBB0_7:
	s_or_b64 exec, exec, s[6:7]
	s_waitcnt lgkmcnt(3)
	v_mul_f32_e32 v91, v13, v43
	v_mul_f32_e32 v13, v13, v42
	v_fmac_f32_e32 v91, v12, v42
	v_fma_f32 v12, v12, v43, -v13
	s_waitcnt lgkmcnt(2)
	v_mul_f32_e32 v13, v15, v53
	v_mul_f32_e32 v15, v15, v52
	v_fmac_f32_e32 v13, v14, v52
	v_fma_f32 v14, v14, v53, -v15
	s_waitcnt lgkmcnt(1)
	v_mul_f32_e32 v15, v9, v49
	v_mul_f32_e32 v9, v9, v48
	v_fma_f32 v42, v8, v49, -v9
	v_mul_f32_e32 v49, v5, v51
	v_mul_f32_e32 v5, v5, v50
	;; [unrolled: 1-line block ×3, first 2 shown]
	v_fmac_f32_e32 v49, v4, v50
	v_fma_f32 v50, v4, v51, -v5
	s_waitcnt lgkmcnt(0)
	v_mul_f32_e32 v51, v7, v82
	v_mul_f32_e32 v4, v7, v81
	v_add_f32_e32 v7, v12, v14
	v_fmac_f32_e32 v15, v8, v48
	v_fmac_f32_e32 v43, v10, v54
	v_mul_f32_e32 v8, v11, v54
	v_add_f32_e32 v5, v91, v13
	v_fma_f32 v7, -0.5, v7, v45
	v_fma_f32 v48, v10, v55, -v8
	v_fmac_f32_e32 v51, v6, v81
	v_fma_f32 v52, v6, v82, -v4
	v_fma_f32 v6, -0.5, v5, v44
	v_sub_f32_e32 v10, v91, v13
	v_mov_b32_e32 v9, v7
	v_add_f32_e32 v11, v15, v43
	v_add_f32_e32 v4, v44, v91
	v_sub_f32_e32 v5, v12, v14
	v_mov_b32_e32 v8, v6
	v_fmac_f32_e32 v9, 0x3f5db3d7, v10
	v_fmac_f32_e32 v7, 0xbf5db3d7, v10
	v_add_f32_e32 v10, v46, v15
	v_fma_f32 v46, -0.5, v11, v46
	v_add_f32_e32 v4, v4, v13
	v_fmac_f32_e32 v8, 0xbf5db3d7, v5
	v_fmac_f32_e32 v6, 0x3f5db3d7, v5
	v_add_f32_e32 v5, v45, v12
	v_sub_f32_e32 v11, v42, v48
	v_mov_b32_e32 v12, v46
	v_add_f32_e32 v13, v42, v48
	v_fmac_f32_e32 v12, 0xbf5db3d7, v11
	v_fmac_f32_e32 v46, 0x3f5db3d7, v11
	v_add_f32_e32 v11, v47, v42
	v_fmac_f32_e32 v47, -0.5, v13
	v_add_f32_e32 v5, v5, v14
	v_sub_f32_e32 v14, v15, v43
	v_mov_b32_e32 v13, v47
	v_add_f32_e32 v15, v49, v51
	v_fmac_f32_e32 v13, 0x3f5db3d7, v14
	v_fmac_f32_e32 v47, 0xbf5db3d7, v14
	v_add_f32_e32 v14, v40, v49
	v_fma_f32 v40, -0.5, v15, v40
	v_add_f32_e32 v10, v10, v43
	v_sub_f32_e32 v15, v50, v52
	v_mov_b32_e32 v42, v40
	v_add_f32_e32 v43, v50, v52
	v_fmac_f32_e32 v42, 0xbf5db3d7, v15
	v_fmac_f32_e32 v40, 0x3f5db3d7, v15
	v_add_f32_e32 v15, v41, v50
	v_fmac_f32_e32 v41, -0.5, v43
	v_sub_f32_e32 v44, v49, v51
	v_mov_b32_e32 v43, v41
	v_add_f32_e32 v11, v11, v48
	v_add_f32_e32 v14, v14, v51
	;; [unrolled: 1-line block ×3, first 2 shown]
	v_fmac_f32_e32 v43, 0x3f5db3d7, v44
	v_fmac_f32_e32 v41, 0xbf5db3d7, v44
	s_barrier
	ds_write2_b64 v88, v[4:5], v[8:9] offset1:11
	ds_write_b64 v88, v[6:7] offset:176
	ds_write2_b64 v89, v[10:11], v[12:13] offset1:11
	ds_write_b64 v89, v[46:47] offset:176
	;; [unrolled: 2-line block ×3, first 2 shown]
	s_and_saveexec_b64 s[6:7], vcc
	s_cbranch_execz .LBB0_9
; %bb.8:
	v_mul_f32_e32 v4, v1, v38
	v_fma_f32 v5, v0, v39, -v4
	v_mul_f32_e32 v4, v3, v79
	v_fma_f32 v7, v2, v80, -v4
	v_add_f32_e32 v4, v5, v7
	v_mul_f32_e32 v8, v1, v39
	v_mul_f32_e32 v9, v3, v80
	v_fma_f32 v4, -0.5, v4, v37
	v_fmac_f32_e32 v8, v0, v38
	v_fmac_f32_e32 v9, v2, v79
	v_sub_f32_e32 v0, v8, v9
	v_mov_b32_e32 v1, v4
	v_fmac_f32_e32 v1, 0xbf5db3d7, v0
	v_fmac_f32_e32 v4, 0x3f5db3d7, v0
	v_add_f32_e32 v0, v37, v5
	v_add_f32_e32 v6, v0, v7
	;; [unrolled: 1-line block ×3, first 2 shown]
	v_fma_f32 v3, -0.5, v0, v36
	v_sub_f32_e32 v2, v5, v7
	v_mov_b32_e32 v0, v3
	v_fmac_f32_e32 v0, 0x3f5db3d7, v2
	v_fmac_f32_e32 v3, 0xbf5db3d7, v2
	v_add_f32_e32 v2, v36, v8
	v_add_f32_e32 v5, v2, v9
	v_mul_u32_u24_e32 v2, 33, v86
	v_add_u32_sdwa v2, v2, v87 dst_sel:DWORD dst_unused:UNUSED_PAD src0_sel:DWORD src1_sel:BYTE_0
	v_lshl_add_u32 v2, v2, 3, v85
	ds_write2_b64 v2, v[5:6], v[3:4] offset1:11
	ds_write_b64 v2, v[0:1] offset:176
.LBB0_9:
	s_or_b64 exec, exec, s[6:7]
	s_waitcnt lgkmcnt(0)
	s_barrier
	ds_read2_b64 v[1:4], v83 offset1:33
	ds_read2_b64 v[5:8], v83 offset0:66 offset1:99
	ds_read2_b64 v[9:12], v83 offset0:132 offset1:165
	ds_read2_b64 v[36:39], v83 offset0:198 offset1:231
	v_add_u32_e32 v0, 0x800, v83
	s_waitcnt lgkmcnt(3)
	v_mul_f32_e32 v15, v29, v4
	v_fmac_f32_e32 v15, v28, v3
	v_mul_f32_e32 v3, v29, v3
	v_fma_f32 v28, v28, v4, -v3
	s_waitcnt lgkmcnt(2)
	v_mul_f32_e32 v29, v31, v6
	v_mul_f32_e32 v3, v31, v5
	v_fmac_f32_e32 v29, v30, v5
	v_fma_f32 v5, v30, v6, -v3
	v_mul_f32_e32 v6, v25, v8
	v_mul_f32_e32 v3, v25, v7
	ds_read2_b64 v[40:43], v0 offset0:8 offset1:41
	ds_read_b64 v[44:45], v83 offset:2640
	v_fmac_f32_e32 v6, v24, v7
	v_fma_f32 v7, v24, v8, -v3
	s_waitcnt lgkmcnt(3)
	v_mul_f32_e32 v8, v27, v10
	v_mul_f32_e32 v3, v27, v9
	v_fmac_f32_e32 v8, v26, v9
	v_fma_f32 v9, v26, v10, -v3
	v_mul_f32_e32 v10, v21, v12
	v_mul_f32_e32 v3, v21, v11
	v_fmac_f32_e32 v10, v20, v11
	v_fma_f32 v11, v20, v12, -v3
	s_waitcnt lgkmcnt(2)
	v_mul_f32_e32 v3, v23, v36
	v_fma_f32 v20, v22, v37, -v3
	v_mul_f32_e32 v21, v17, v39
	v_mul_f32_e32 v3, v17, v38
	v_fmac_f32_e32 v21, v16, v38
	v_fma_f32 v16, v16, v39, -v3
	s_waitcnt lgkmcnt(1)
	v_mul_f32_e32 v17, v19, v41
	v_mul_f32_e32 v3, v19, v40
	;; [unrolled: 1-line block ×3, first 2 shown]
	v_fmac_f32_e32 v17, v18, v40
	v_fma_f32 v18, v18, v41, -v3
	v_mul_f32_e32 v3, v33, v42
	v_fmac_f32_e32 v12, v22, v36
	v_fma_f32 v22, v32, v43, -v3
	s_waitcnt lgkmcnt(0)
	v_mul_f32_e32 v3, v35, v44
	v_fma_f32 v24, v34, v45, -v3
	v_add_f32_e32 v3, v1, v15
	v_add_f32_e32 v4, v2, v28
	;; [unrolled: 1-line block ×11, first 2 shown]
	v_mul_f32_e32 v19, v33, v43
	v_add_f32_e32 v4, v4, v20
	v_add_f32_e32 v3, v3, v21
	v_fmac_f32_e32 v19, v32, v42
	v_mul_f32_e32 v23, v35, v45
	v_add_f32_e32 v4, v4, v16
	v_add_f32_e32 v3, v3, v17
	v_fmac_f32_e32 v23, v34, v44
	v_add_f32_e32 v4, v4, v18
	v_add_f32_e32 v3, v3, v19
	;; [unrolled: 1-line block ×5, first 2 shown]
	v_sub_f32_e32 v15, v15, v23
	v_sub_f32_e32 v23, v28, v24
	v_mad_u64_u32 v[13:14], s[6:7], s2, v64, 0
	v_add_f32_e32 v4, v4, v24
	v_add_f32_e32 v26, v28, v24
	v_mul_f32_e32 v24, 0xbf0a6770, v23
	v_mul_f32_e32 v31, 0xbf68dda4, v23
	;; [unrolled: 1-line block ×5, first 2 shown]
	s_mov_b32 s7, 0x3f575c64
	s_mov_b32 s6, 0x3ed4b147
	;; [unrolled: 1-line block ×5, first 2 shown]
	v_mov_b32_e32 v43, v23
	v_fma_f32 v27, v25, s7, -v24
	v_fmac_f32_e32 v24, 0x3f575c64, v25
	v_mul_f32_e32 v28, 0x3f575c64, v26
	v_fma_f32 v32, v25, s6, -v31
	v_fmac_f32_e32 v31, 0x3ed4b147, v25
	v_mul_f32_e32 v33, 0x3ed4b147, v26
	;; [unrolled: 3-line block ×4, first 2 shown]
	v_fmac_f32_e32 v43, 0xbf75a155, v25
	v_mul_f32_e32 v26, 0xbf75a155, v26
	v_fma_f32 v23, v25, s9, -v23
	v_add_f32_e32 v24, v1, v24
	v_mov_b32_e32 v30, v28
	v_add_f32_e32 v27, v1, v27
	v_add_f32_e32 v31, v1, v31
	v_mov_b32_e32 v34, v33
	v_add_f32_e32 v32, v1, v32
	;; [unrolled: 3-line block ×5, first 2 shown]
	v_add_f32_e32 v23, v5, v22
	v_sub_f32_e32 v5, v5, v22
	v_fmac_f32_e32 v30, 0x3f0a6770, v15
	v_fmac_f32_e32 v28, 0xbf0a6770, v15
	;; [unrolled: 1-line block ×10, first 2 shown]
	v_add_f32_e32 v15, v29, v19
	v_mul_f32_e32 v22, 0xbf68dda4, v5
	v_fma_f32 v25, v15, s6, -v22
	v_fmac_f32_e32 v22, 0x3ed4b147, v15
	v_sub_f32_e32 v19, v29, v19
	v_add_f32_e32 v22, v22, v24
	v_mul_f32_e32 v24, 0x3ed4b147, v23
	v_add_f32_e32 v30, v2, v30
	v_add_f32_e32 v28, v2, v28
	;; [unrolled: 1-line block ×10, first 2 shown]
	v_mov_b32_e32 v26, v24
	v_add_f32_e32 v25, v25, v27
	v_fmac_f32_e32 v24, 0xbf68dda4, v19
	v_mul_f32_e32 v27, 0xbf4178ce, v5
	v_add_f32_e32 v24, v24, v28
	v_fma_f32 v28, v15, s8, -v27
	v_fmac_f32_e32 v27, 0xbf27a4f4, v15
	v_add_f32_e32 v27, v27, v31
	v_mul_f32_e32 v31, 0x3e903f40, v5
	v_fmac_f32_e32 v26, 0x3f68dda4, v19
	v_mul_f32_e32 v29, 0xbf27a4f4, v23
	v_add_f32_e32 v28, v28, v32
	v_fma_f32 v32, v15, s9, -v31
	v_fmac_f32_e32 v31, 0xbf75a155, v15
	v_add_f32_e32 v26, v26, v30
	v_mov_b32_e32 v30, v29
	v_fmac_f32_e32 v29, 0xbf4178ce, v19
	v_add_f32_e32 v31, v31, v35
	v_mul_f32_e32 v35, 0x3f7d64f0, v5
	v_fmac_f32_e32 v30, 0x3f4178ce, v19
	v_add_f32_e32 v29, v29, v33
	v_mul_f32_e32 v33, 0xbf75a155, v23
	v_add_f32_e32 v32, v32, v36
	v_fma_f32 v36, v15, s2, -v35
	v_fmac_f32_e32 v35, 0xbe11bafb, v15
	v_mul_f32_e32 v5, 0x3f0a6770, v5
	v_add_f32_e32 v30, v30, v34
	v_mov_b32_e32 v34, v33
	v_fmac_f32_e32 v33, 0x3e903f40, v19
	v_add_f32_e32 v35, v35, v39
	v_mov_b32_e32 v39, v5
	v_fmac_f32_e32 v34, 0xbe903f40, v19
	v_add_f32_e32 v33, v33, v37
	v_mul_f32_e32 v37, 0xbe11bafb, v23
	v_fmac_f32_e32 v39, 0x3f575c64, v15
	v_mul_f32_e32 v23, 0x3f575c64, v23
	v_fma_f32 v5, v15, s7, -v5
	v_add_f32_e32 v15, v7, v18
	v_sub_f32_e32 v7, v7, v18
	v_add_f32_e32 v34, v34, v38
	v_mov_b32_e32 v38, v37
	v_add_f32_e32 v36, v36, v40
	v_mov_b32_e32 v40, v23
	v_add_f32_e32 v1, v5, v1
	v_add_f32_e32 v5, v6, v17
	v_sub_f32_e32 v6, v6, v17
	v_mul_f32_e32 v17, 0xbf7d64f0, v7
	v_fmac_f32_e32 v38, 0xbf7d64f0, v19
	v_fmac_f32_e32 v37, 0x3f7d64f0, v19
	;; [unrolled: 1-line block ×4, first 2 shown]
	v_fma_f32 v18, v5, s2, -v17
	v_fmac_f32_e32 v17, 0xbe11bafb, v5
	v_mul_f32_e32 v19, 0xbe11bafb, v15
	v_add_f32_e32 v2, v23, v2
	v_add_f32_e32 v17, v17, v22
	v_mov_b32_e32 v22, v19
	v_fmac_f32_e32 v19, 0xbf7d64f0, v6
	v_mul_f32_e32 v23, 0x3e903f40, v7
	v_add_f32_e32 v19, v19, v24
	v_fma_f32 v24, v5, s9, -v23
	v_fmac_f32_e32 v23, 0xbf75a155, v5
	v_add_f32_e32 v23, v23, v27
	v_mul_f32_e32 v27, 0x3f68dda4, v7
	v_fmac_f32_e32 v22, 0x3f7d64f0, v6
	v_add_f32_e32 v18, v18, v25
	v_mul_f32_e32 v25, 0xbf75a155, v15
	v_add_f32_e32 v24, v24, v28
	v_fma_f32 v28, v5, s6, -v27
	v_fmac_f32_e32 v27, 0x3ed4b147, v5
	v_add_f32_e32 v22, v22, v26
	v_mov_b32_e32 v26, v25
	v_fmac_f32_e32 v25, 0x3e903f40, v6
	v_add_f32_e32 v27, v27, v31
	v_mul_f32_e32 v31, 0xbf0a6770, v7
	v_fmac_f32_e32 v26, 0xbe903f40, v6
	v_add_f32_e32 v25, v25, v29
	v_mul_f32_e32 v29, 0x3ed4b147, v15
	v_add_f32_e32 v28, v28, v32
	v_fma_f32 v32, v5, s7, -v31
	v_fmac_f32_e32 v31, 0x3f575c64, v5
	v_mul_f32_e32 v7, 0xbf4178ce, v7
	v_add_f32_e32 v26, v26, v30
	v_mov_b32_e32 v30, v29
	v_fmac_f32_e32 v29, 0x3f68dda4, v6
	v_add_f32_e32 v31, v31, v35
	v_mov_b32_e32 v35, v7
	v_fmac_f32_e32 v30, 0xbf68dda4, v6
	v_add_f32_e32 v29, v29, v33
	v_mul_f32_e32 v33, 0x3f575c64, v15
	v_fmac_f32_e32 v35, 0xbf27a4f4, v5
	v_mul_f32_e32 v15, 0xbf27a4f4, v15
	v_fma_f32 v5, v5, s8, -v7
	v_add_f32_e32 v30, v30, v34
	v_mov_b32_e32 v34, v33
	v_add_f32_e32 v32, v32, v36
	v_mov_b32_e32 v36, v15
	v_add_f32_e32 v1, v5, v1
	v_add_f32_e32 v5, v8, v21
	v_sub_f32_e32 v7, v8, v21
	v_sub_f32_e32 v8, v9, v16
	v_fmac_f32_e32 v34, 0x3f0a6770, v6
	v_fmac_f32_e32 v33, 0xbf0a6770, v6
	;; [unrolled: 1-line block ×4, first 2 shown]
	v_add_f32_e32 v6, v9, v16
	v_mul_f32_e32 v9, 0xbf4178ce, v8
	v_add_f32_e32 v2, v15, v2
	v_fma_f32 v15, v5, s8, -v9
	v_fmac_f32_e32 v9, 0xbf27a4f4, v5
	v_mul_f32_e32 v16, 0xbf27a4f4, v6
	v_add_f32_e32 v9, v9, v17
	v_mov_b32_e32 v17, v16
	v_add_f32_e32 v15, v15, v18
	v_fmac_f32_e32 v16, 0xbf4178ce, v7
	v_mul_f32_e32 v18, 0x3f7d64f0, v8
	v_fmac_f32_e32 v17, 0x3f4178ce, v7
	v_add_f32_e32 v16, v16, v19
	v_fma_f32 v19, v5, s2, -v18
	v_fmac_f32_e32 v18, 0xbe11bafb, v5
	v_mul_f32_e32 v21, 0xbe11bafb, v6
	v_add_f32_e32 v17, v17, v22
	v_add_f32_e32 v18, v18, v23
	v_mov_b32_e32 v22, v21
	v_fmac_f32_e32 v21, 0x3f7d64f0, v7
	v_mul_f32_e32 v23, 0xbf0a6770, v8
	v_fmac_f32_e32 v22, 0xbf7d64f0, v7
	v_add_f32_e32 v19, v19, v24
	v_add_f32_e32 v21, v21, v25
	v_fma_f32 v24, v5, s7, -v23
	v_fmac_f32_e32 v23, 0x3f575c64, v5
	v_mul_f32_e32 v25, 0x3f575c64, v6
	v_add_f32_e32 v22, v22, v26
	v_add_f32_e32 v23, v23, v27
	v_mov_b32_e32 v26, v25
	v_fmac_f32_e32 v25, 0xbf0a6770, v7
	v_mul_f32_e32 v27, 0xbe903f40, v8
	v_add_f32_e32 v24, v24, v28
	v_add_f32_e32 v25, v25, v29
	v_fma_f32 v28, v5, s9, -v27
	v_fmac_f32_e32 v27, 0xbf75a155, v5
	v_mul_f32_e32 v29, 0xbf75a155, v6
	v_mul_f32_e32 v8, 0x3f68dda4, v8
	;; [unrolled: 1-line block ×3, first 2 shown]
	v_add_f32_e32 v38, v38, v42
	v_add_f32_e32 v37, v37, v41
	;; [unrolled: 1-line block ×4, first 2 shown]
	v_fmac_f32_e32 v26, 0x3f0a6770, v7
	v_add_f32_e32 v27, v27, v31
	v_add_f32_e32 v28, v28, v32
	v_mov_b32_e32 v31, v8
	v_mov_b32_e32 v32, v6
	v_add_f32_e32 v34, v34, v38
	v_add_f32_e32 v33, v33, v37
	;; [unrolled: 1-line block ×5, first 2 shown]
	v_mov_b32_e32 v30, v29
	v_fmac_f32_e32 v29, 0xbe903f40, v7
	v_fmac_f32_e32 v31, 0x3ed4b147, v5
	;; [unrolled: 1-line block ×3, first 2 shown]
	v_fma_f32 v5, v5, s6, -v8
	v_sub_f32_e32 v38, v11, v20
	v_fmac_f32_e32 v30, 0x3e903f40, v7
	v_add_f32_e32 v29, v29, v33
	v_add_f32_e32 v31, v31, v35
	;; [unrolled: 1-line block ×4, first 2 shown]
	v_fmac_f32_e32 v6, 0x3f68dda4, v7
	v_add_f32_e32 v35, v10, v12
	v_add_f32_e32 v36, v11, v20
	v_mul_f32_e32 v1, 0xbe903f40, v38
	v_add_f32_e32 v30, v30, v34
	v_add_f32_e32 v34, v6, v2
	v_sub_f32_e32 v37, v10, v12
	v_fma_f32 v5, v35, s9, -v1
	v_mul_f32_e32 v6, 0xbf75a155, v36
	v_mul_f32_e32 v10, 0x3f575c64, v36
	;; [unrolled: 1-line block ×3, first 2 shown]
	v_fmac_f32_e32 v1, 0xbf75a155, v35
	v_mov_b32_e32 v2, v6
	v_add_f32_e32 v5, v5, v15
	v_fmac_f32_e32 v6, 0xbe903f40, v37
	v_mul_f32_e32 v7, 0x3f0a6770, v38
	v_mov_b32_e32 v8, v10
	v_fma_f32 v15, v35, s8, -v11
	v_fmac_f32_e32 v11, 0xbf27a4f4, v35
	v_add_f32_e32 v1, v1, v9
	v_fmac_f32_e32 v2, 0x3e903f40, v37
	v_add_f32_e32 v6, v6, v16
	v_fma_f32 v9, v35, s7, -v7
	v_fmac_f32_e32 v7, 0x3f575c64, v35
	v_fmac_f32_e32 v8, 0xbf0a6770, v37
	v_fmac_f32_e32 v10, 0x3f0a6770, v37
	v_add_f32_e32 v11, v11, v23
	v_mul_f32_e32 v16, 0xbf27a4f4, v36
	v_add_f32_e32 v15, v15, v24
	v_mul_f32_e32 v20, 0x3ed4b147, v36
	v_mul_f32_e32 v23, 0xbf7d64f0, v38
	;; [unrolled: 1-line block ×3, first 2 shown]
	v_add_f32_e32 v2, v2, v17
	v_add_f32_e32 v7, v7, v18
	;; [unrolled: 1-line block ×4, first 2 shown]
	v_mov_b32_e32 v12, v16
	v_mul_f32_e32 v17, 0x3f68dda4, v38
	v_mov_b32_e32 v18, v20
	v_mov_b32_e32 v21, v23
	;; [unrolled: 1-line block ×3, first 2 shown]
	v_add_f32_e32 v9, v9, v19
	v_fmac_f32_e32 v12, 0x3f4178ce, v37
	v_fmac_f32_e32 v16, 0xbf4178ce, v37
	v_fma_f32 v19, v35, s6, -v17
	v_fmac_f32_e32 v17, 0x3ed4b147, v35
	v_fmac_f32_e32 v18, 0xbf68dda4, v37
	;; [unrolled: 1-line block ×5, first 2 shown]
	v_fma_f32 v23, v35, s2, -v23
	v_fmac_f32_e32 v24, 0xbf7d64f0, v37
	v_add_f32_e32 v12, v12, v26
	v_add_f32_e32 v16, v16, v25
	;; [unrolled: 1-line block ×10, first 2 shown]
	ds_write2_b64 v83, v[3:4], v[1:2] offset1:33
	ds_write2_b64 v83, v[7:8], v[11:12] offset0:66 offset1:99
	ds_write2_b64 v83, v[17:18], v[21:22] offset0:132 offset1:165
	;; [unrolled: 1-line block ×4, first 2 shown]
	ds_write_b64 v83, v[5:6] offset:2640
	s_waitcnt lgkmcnt(0)
	s_barrier
	ds_read2_b64 v[1:4], v83 offset1:33
	s_mov_b32 s6, 0x3a88d0c0
	s_mov_b32 s7, 0x3f669147
	v_mad_u64_u32 v[8:9], s[8:9], s0, v84, 0
	s_waitcnt lgkmcnt(0)
	v_mul_f32_e32 v6, v78, v2
	v_fmac_f32_e32 v6, v77, v1
	v_cvt_f64_f32_e32 v[6:7], v6
	v_mul_f32_e32 v1, v78, v1
	v_fma_f32 v1, v77, v2, -v1
	v_cvt_f64_f32_e32 v[1:2], v1
	v_mul_f64 v[6:7], v[6:7], s[6:7]
	v_mov_b32_e32 v5, v14
	v_mul_f64 v[1:2], v[1:2], s[6:7]
	v_mad_u64_u32 v[10:11], s[2:3], s3, v64, v[5:6]
	v_mov_b32_e32 v5, v9
	v_mad_u64_u32 v[11:12], s[2:3], s1, v84, v[5:6]
	v_mov_b32_e32 v14, v10
	v_mul_f32_e32 v10, v76, v4
	v_fmac_f32_e32 v10, v75, v3
	v_mov_b32_e32 v9, v11
	v_cvt_f64_f32_e32 v[10:11], v10
	v_cvt_f32_f64_e32 v5, v[6:7]
	v_cvt_f32_f64_e32 v6, v[1:2]
	v_lshlrev_b64 v[1:2], 3, v[13:14]
	v_mul_f32_e32 v3, v76, v3
	v_fma_f32 v3, v75, v4, -v3
	v_mov_b32_e32 v7, s5
	v_cvt_f64_f32_e32 v[3:4], v3
	v_add_co_u32_e32 v12, vcc, s4, v1
	v_addc_co_u32_e32 v13, vcc, v7, v2, vcc
	v_lshlrev_b64 v[1:2], 3, v[8:9]
	v_mul_f64 v[7:8], v[10:11], s[6:7]
	v_add_co_u32_e32 v11, vcc, v12, v1
	v_mul_f64 v[9:10], v[3:4], s[6:7]
	v_addc_co_u32_e32 v12, vcc, v13, v2, vcc
	ds_read2_b64 v[1:4], v83 offset0:66 offset1:99
	global_store_dwordx2 v[11:12], v[5:6], off
	v_cvt_f32_f64_e32 v5, v[7:8]
	s_mulk_i32 s1, 0x108
	s_mul_hi_u32 s2, s0, 0x108
	s_waitcnt lgkmcnt(0)
	v_mul_f32_e32 v7, v74, v2
	v_fmac_f32_e32 v7, v73, v1
	v_mul_f32_e32 v1, v74, v1
	v_fma_f32 v1, v73, v2, -v1
	v_cvt_f64_f32_e32 v[1:2], v1
	v_cvt_f64_f32_e32 v[7:8], v7
	v_cvt_f32_f64_e32 v6, v[9:10]
	s_add_i32 s1, s2, s1
	v_mul_f64 v[1:2], v[1:2], s[6:7]
	v_mul_f64 v[7:8], v[7:8], s[6:7]
	s_mulk_i32 s0, 0x108
	v_mov_b32_e32 v10, s1
	v_add_co_u32_e32 v9, vcc, s0, v11
	v_addc_co_u32_e32 v10, vcc, v12, v10, vcc
	global_store_dwordx2 v[9:10], v[5:6], off
	v_cvt_f32_f64_e32 v6, v[1:2]
	v_mul_f32_e32 v1, v70, v4
	v_fmac_f32_e32 v1, v69, v3
	v_cvt_f32_f64_e32 v5, v[7:8]
	v_cvt_f64_f32_e32 v[7:8], v1
	v_mul_f32_e32 v1, v70, v3
	v_fma_f32 v1, v69, v4, -v1
	v_cvt_f64_f32_e32 v[11:12], v1
	ds_read2_b64 v[1:4], v83 offset0:132 offset1:165
	v_mov_b32_e32 v13, s1
	v_add_co_u32_e32 v9, vcc, s0, v9
	v_addc_co_u32_e32 v10, vcc, v10, v13, vcc
	global_store_dwordx2 v[9:10], v[5:6], off
	v_mul_f64 v[5:6], v[7:8], s[6:7]
	v_mul_f64 v[7:8], v[11:12], s[6:7]
	s_waitcnt lgkmcnt(0)
	v_mul_f32_e32 v11, v68, v2
	v_fmac_f32_e32 v11, v67, v1
	v_mul_f32_e32 v1, v68, v1
	v_fma_f32 v1, v67, v2, -v1
	v_cvt_f64_f32_e32 v[1:2], v1
	v_cvt_f64_f32_e32 v[11:12], v11
	v_cvt_f32_f64_e32 v5, v[5:6]
	v_cvt_f32_f64_e32 v6, v[7:8]
	v_mul_f64 v[1:2], v[1:2], s[6:7]
	v_mul_f64 v[7:8], v[11:12], s[6:7]
	v_mov_b32_e32 v11, s1
	v_add_co_u32_e32 v9, vcc, s0, v9
	v_addc_co_u32_e32 v10, vcc, v10, v11, vcc
	global_store_dwordx2 v[9:10], v[5:6], off
	v_cvt_f32_f64_e32 v6, v[1:2]
	v_mul_f32_e32 v1, v72, v4
	v_fmac_f32_e32 v1, v71, v3
	v_cvt_f32_f64_e32 v5, v[7:8]
	v_cvt_f64_f32_e32 v[7:8], v1
	v_mul_f32_e32 v1, v72, v3
	v_fma_f32 v1, v71, v4, -v1
	v_cvt_f64_f32_e32 v[11:12], v1
	ds_read2_b64 v[1:4], v83 offset0:198 offset1:231
	v_add_co_u32_e32 v9, vcc, s0, v9
	v_addc_co_u32_e32 v10, vcc, v10, v13, vcc
	global_store_dwordx2 v[9:10], v[5:6], off
	v_mul_f64 v[5:6], v[7:8], s[6:7]
	v_mul_f64 v[7:8], v[11:12], s[6:7]
	s_waitcnt lgkmcnt(0)
	v_mul_f32_e32 v11, v66, v2
	v_fmac_f32_e32 v11, v65, v1
	v_mul_f32_e32 v1, v66, v1
	v_fma_f32 v1, v65, v2, -v1
	v_cvt_f64_f32_e32 v[1:2], v1
	v_cvt_f64_f32_e32 v[11:12], v11
	v_cvt_f32_f64_e32 v5, v[5:6]
	v_cvt_f32_f64_e32 v6, v[7:8]
	v_mul_f64 v[1:2], v[1:2], s[6:7]
	v_mul_f64 v[7:8], v[11:12], s[6:7]
	v_mov_b32_e32 v11, s1
	v_add_co_u32_e32 v9, vcc, s0, v9
	v_addc_co_u32_e32 v10, vcc, v10, v11, vcc
	global_store_dwordx2 v[9:10], v[5:6], off
	v_cvt_f32_f64_e32 v6, v[1:2]
	v_mul_f32_e32 v1, v63, v4
	v_fmac_f32_e32 v1, v62, v3
	v_cvt_f32_f64_e32 v5, v[7:8]
	v_cvt_f64_f32_e32 v[7:8], v1
	v_mul_f32_e32 v1, v63, v3
	v_fma_f32 v1, v62, v4, -v1
	v_cvt_f64_f32_e32 v[11:12], v1
	ds_read2_b64 v[0:3], v0 offset0:8 offset1:41
	v_add_co_u32_e32 v9, vcc, s0, v9
	v_addc_co_u32_e32 v10, vcc, v10, v13, vcc
	global_store_dwordx2 v[9:10], v[5:6], off
	v_mul_f64 v[4:5], v[7:8], s[6:7]
	s_waitcnt lgkmcnt(0)
	v_mul_f32_e32 v8, v61, v1
	v_fmac_f32_e32 v8, v60, v0
	v_mul_f32_e32 v0, v61, v0
	v_mul_f64 v[6:7], v[11:12], s[6:7]
	v_fma_f32 v0, v60, v1, -v0
	v_cvt_f64_f32_e32 v[0:1], v0
	v_cvt_f64_f32_e32 v[11:12], v8
	v_cvt_f32_f64_e32 v4, v[4:5]
	v_add_co_u32_e32 v8, vcc, s0, v9
	v_mul_f64 v[0:1], v[0:1], s[6:7]
	v_cvt_f32_f64_e32 v5, v[6:7]
	v_mul_f64 v[6:7], v[11:12], s[6:7]
	v_mov_b32_e32 v11, s1
	v_addc_co_u32_e32 v9, vcc, v10, v11, vcc
	global_store_dwordx2 v[8:9], v[4:5], off
	v_mov_b32_e32 v10, s1
	v_cvt_f32_f64_e32 v5, v[0:1]
	v_mul_f32_e32 v0, v59, v3
	v_fmac_f32_e32 v0, v58, v2
	v_mul_f32_e32 v2, v59, v2
	v_fma_f32 v2, v58, v3, -v2
	v_cvt_f32_f64_e32 v4, v[6:7]
	v_cvt_f64_f32_e32 v[0:1], v0
	v_cvt_f64_f32_e32 v[2:3], v2
	ds_read_b64 v[6:7], v83 offset:2640
	v_add_co_u32_e32 v8, vcc, s0, v8
	v_addc_co_u32_e32 v9, vcc, v9, v10, vcc
	v_mul_f64 v[0:1], v[0:1], s[6:7]
	v_mul_f64 v[2:3], v[2:3], s[6:7]
	global_store_dwordx2 v[8:9], v[4:5], off
	s_waitcnt lgkmcnt(0)
	v_mul_f32_e32 v4, v57, v7
	v_fmac_f32_e32 v4, v56, v6
	v_mul_f32_e32 v6, v57, v6
	v_fma_f32 v6, v56, v7, -v6
	v_cvt_f64_f32_e32 v[4:5], v4
	v_cvt_f64_f32_e32 v[6:7], v6
	v_cvt_f32_f64_e32 v0, v[0:1]
	v_cvt_f32_f64_e32 v1, v[2:3]
	v_mul_f64 v[2:3], v[4:5], s[6:7]
	v_mul_f64 v[4:5], v[6:7], s[6:7]
	v_mov_b32_e32 v7, s1
	v_add_co_u32_e32 v6, vcc, s0, v8
	v_addc_co_u32_e32 v7, vcc, v9, v7, vcc
	global_store_dwordx2 v[6:7], v[0:1], off
	v_cvt_f32_f64_e32 v0, v[2:3]
	v_cvt_f32_f64_e32 v1, v[4:5]
	v_mov_b32_e32 v3, s1
	v_add_co_u32_e32 v2, vcc, s0, v6
	v_addc_co_u32_e32 v3, vcc, v7, v3, vcc
	global_store_dwordx2 v[2:3], v[0:1], off
.LBB0_10:
	s_endpgm
	.section	.rodata,"a",@progbits
	.p2align	6, 0x0
	.amdhsa_kernel bluestein_single_back_len363_dim1_sp_op_CI_CI
		.amdhsa_group_segment_fixed_size 8712
		.amdhsa_private_segment_fixed_size 0
		.amdhsa_kernarg_size 104
		.amdhsa_user_sgpr_count 6
		.amdhsa_user_sgpr_private_segment_buffer 1
		.amdhsa_user_sgpr_dispatch_ptr 0
		.amdhsa_user_sgpr_queue_ptr 0
		.amdhsa_user_sgpr_kernarg_segment_ptr 1
		.amdhsa_user_sgpr_dispatch_id 0
		.amdhsa_user_sgpr_flat_scratch_init 0
		.amdhsa_user_sgpr_private_segment_size 0
		.amdhsa_uses_dynamic_stack 0
		.amdhsa_system_sgpr_private_segment_wavefront_offset 0
		.amdhsa_system_sgpr_workgroup_id_x 1
		.amdhsa_system_sgpr_workgroup_id_y 0
		.amdhsa_system_sgpr_workgroup_id_z 0
		.amdhsa_system_sgpr_workgroup_info 0
		.amdhsa_system_vgpr_workitem_id 0
		.amdhsa_next_free_vgpr 116
		.amdhsa_next_free_sgpr 20
		.amdhsa_reserve_vcc 1
		.amdhsa_reserve_flat_scratch 0
		.amdhsa_float_round_mode_32 0
		.amdhsa_float_round_mode_16_64 0
		.amdhsa_float_denorm_mode_32 3
		.amdhsa_float_denorm_mode_16_64 3
		.amdhsa_dx10_clamp 1
		.amdhsa_ieee_mode 1
		.amdhsa_fp16_overflow 0
		.amdhsa_exception_fp_ieee_invalid_op 0
		.amdhsa_exception_fp_denorm_src 0
		.amdhsa_exception_fp_ieee_div_zero 0
		.amdhsa_exception_fp_ieee_overflow 0
		.amdhsa_exception_fp_ieee_underflow 0
		.amdhsa_exception_fp_ieee_inexact 0
		.amdhsa_exception_int_div_zero 0
	.end_amdhsa_kernel
	.text
.Lfunc_end0:
	.size	bluestein_single_back_len363_dim1_sp_op_CI_CI, .Lfunc_end0-bluestein_single_back_len363_dim1_sp_op_CI_CI
                                        ; -- End function
	.section	.AMDGPU.csdata,"",@progbits
; Kernel info:
; codeLenInByte = 12780
; NumSgprs: 24
; NumVgprs: 116
; ScratchSize: 0
; MemoryBound: 0
; FloatMode: 240
; IeeeMode: 1
; LDSByteSize: 8712 bytes/workgroup (compile time only)
; SGPRBlocks: 2
; VGPRBlocks: 28
; NumSGPRsForWavesPerEU: 24
; NumVGPRsForWavesPerEU: 116
; Occupancy: 2
; WaveLimiterHint : 1
; COMPUTE_PGM_RSRC2:SCRATCH_EN: 0
; COMPUTE_PGM_RSRC2:USER_SGPR: 6
; COMPUTE_PGM_RSRC2:TRAP_HANDLER: 0
; COMPUTE_PGM_RSRC2:TGID_X_EN: 1
; COMPUTE_PGM_RSRC2:TGID_Y_EN: 0
; COMPUTE_PGM_RSRC2:TGID_Z_EN: 0
; COMPUTE_PGM_RSRC2:TIDIG_COMP_CNT: 0
	.type	__hip_cuid_d1d444934e8cb205,@object ; @__hip_cuid_d1d444934e8cb205
	.section	.bss,"aw",@nobits
	.globl	__hip_cuid_d1d444934e8cb205
__hip_cuid_d1d444934e8cb205:
	.byte	0                               ; 0x0
	.size	__hip_cuid_d1d444934e8cb205, 1

	.ident	"AMD clang version 19.0.0git (https://github.com/RadeonOpenCompute/llvm-project roc-6.4.0 25133 c7fe45cf4b819c5991fe208aaa96edf142730f1d)"
	.section	".note.GNU-stack","",@progbits
	.addrsig
	.addrsig_sym __hip_cuid_d1d444934e8cb205
	.amdgpu_metadata
---
amdhsa.kernels:
  - .args:
      - .actual_access:  read_only
        .address_space:  global
        .offset:         0
        .size:           8
        .value_kind:     global_buffer
      - .actual_access:  read_only
        .address_space:  global
        .offset:         8
        .size:           8
        .value_kind:     global_buffer
      - .actual_access:  read_only
        .address_space:  global
        .offset:         16
        .size:           8
        .value_kind:     global_buffer
      - .actual_access:  read_only
        .address_space:  global
        .offset:         24
        .size:           8
        .value_kind:     global_buffer
      - .actual_access:  read_only
        .address_space:  global
        .offset:         32
        .size:           8
        .value_kind:     global_buffer
      - .offset:         40
        .size:           8
        .value_kind:     by_value
      - .address_space:  global
        .offset:         48
        .size:           8
        .value_kind:     global_buffer
      - .address_space:  global
        .offset:         56
        .size:           8
        .value_kind:     global_buffer
      - .address_space:  global
        .offset:         64
        .size:           8
        .value_kind:     global_buffer
      - .address_space:  global
        .offset:         72
        .size:           8
        .value_kind:     global_buffer
      - .offset:         80
        .size:           4
        .value_kind:     by_value
      - .address_space:  global
        .offset:         88
        .size:           8
        .value_kind:     global_buffer
      - .address_space:  global
        .offset:         96
        .size:           8
        .value_kind:     global_buffer
    .group_segment_fixed_size: 8712
    .kernarg_segment_align: 8
    .kernarg_segment_size: 104
    .language:       OpenCL C
    .language_version:
      - 2
      - 0
    .max_flat_workgroup_size: 99
    .name:           bluestein_single_back_len363_dim1_sp_op_CI_CI
    .private_segment_fixed_size: 0
    .sgpr_count:     24
    .sgpr_spill_count: 0
    .symbol:         bluestein_single_back_len363_dim1_sp_op_CI_CI.kd
    .uniform_work_group_size: 1
    .uses_dynamic_stack: false
    .vgpr_count:     116
    .vgpr_spill_count: 0
    .wavefront_size: 64
amdhsa.target:   amdgcn-amd-amdhsa--gfx906
amdhsa.version:
  - 1
  - 2
...

	.end_amdgpu_metadata
